;; amdgpu-corpus repo=ROCm/rocFFT kind=compiled arch=gfx1030 opt=O3
	.text
	.amdgcn_target "amdgcn-amd-amdhsa--gfx1030"
	.amdhsa_code_object_version 6
	.protected	fft_rtc_fwd_len1352_factors_2_13_13_4_wgs_52_tpt_52_halfLds_half_op_CI_CI_sbrr_dirReg ; -- Begin function fft_rtc_fwd_len1352_factors_2_13_13_4_wgs_52_tpt_52_halfLds_half_op_CI_CI_sbrr_dirReg
	.globl	fft_rtc_fwd_len1352_factors_2_13_13_4_wgs_52_tpt_52_halfLds_half_op_CI_CI_sbrr_dirReg
	.p2align	8
	.type	fft_rtc_fwd_len1352_factors_2_13_13_4_wgs_52_tpt_52_halfLds_half_op_CI_CI_sbrr_dirReg,@function
fft_rtc_fwd_len1352_factors_2_13_13_4_wgs_52_tpt_52_halfLds_half_op_CI_CI_sbrr_dirReg: ; @fft_rtc_fwd_len1352_factors_2_13_13_4_wgs_52_tpt_52_halfLds_half_op_CI_CI_sbrr_dirReg
; %bb.0:
	s_clause 0x2
	s_load_dwordx4 s[16:19], s[4:5], 0x18
	s_load_dwordx4 s[8:11], s[4:5], 0x0
	;; [unrolled: 1-line block ×3, first 2 shown]
	v_mul_u32_u24_e32 v1, 0x4ed, v0
	v_mov_b32_e32 v3, 0
	s_waitcnt lgkmcnt(0)
	s_load_dwordx2 s[20:21], s[16:17], 0x0
	s_load_dwordx2 s[2:3], s[18:19], 0x0
	v_cmp_lt_u64_e64 s0, s[10:11], 2
	v_add_nc_u32_sdwa v5, s6, v1 dst_sel:DWORD dst_unused:UNUSED_PAD src0_sel:DWORD src1_sel:WORD_1
	v_mov_b32_e32 v1, 0
	v_mov_b32_e32 v6, v3
	;; [unrolled: 1-line block ×3, first 2 shown]
	s_and_b32 vcc_lo, exec_lo, s0
	s_cbranch_vccnz .LBB0_8
; %bb.1:
	s_load_dwordx2 s[0:1], s[4:5], 0x10
	v_mov_b32_e32 v1, 0
	v_mov_b32_e32 v2, 0
	s_add_u32 s6, s18, 8
	s_addc_u32 s7, s19, 0
	s_add_u32 s22, s16, 8
	s_addc_u32 s23, s17, 0
	v_mov_b32_e32 v17, v2
	v_mov_b32_e32 v16, v1
	s_mov_b64 s[26:27], 1
	s_waitcnt lgkmcnt(0)
	s_add_u32 s24, s0, 8
	s_addc_u32 s25, s1, 0
.LBB0_2:                                ; =>This Inner Loop Header: Depth=1
	s_load_dwordx2 s[28:29], s[24:25], 0x0
                                        ; implicit-def: $vgpr18_vgpr19
	s_mov_b32 s0, exec_lo
	s_waitcnt lgkmcnt(0)
	v_or_b32_e32 v4, s29, v6
	v_cmpx_ne_u64_e32 0, v[3:4]
	s_xor_b32 s1, exec_lo, s0
	s_cbranch_execz .LBB0_4
; %bb.3:                                ;   in Loop: Header=BB0_2 Depth=1
	v_cvt_f32_u32_e32 v4, s28
	v_cvt_f32_u32_e32 v7, s29
	s_sub_u32 s0, 0, s28
	s_subb_u32 s30, 0, s29
	v_fmac_f32_e32 v4, 0x4f800000, v7
	v_rcp_f32_e32 v4, v4
	v_mul_f32_e32 v4, 0x5f7ffffc, v4
	v_mul_f32_e32 v7, 0x2f800000, v4
	v_trunc_f32_e32 v7, v7
	v_fmac_f32_e32 v4, 0xcf800000, v7
	v_cvt_u32_f32_e32 v7, v7
	v_cvt_u32_f32_e32 v4, v4
	v_mul_lo_u32 v8, s0, v7
	v_mul_hi_u32 v9, s0, v4
	v_mul_lo_u32 v10, s30, v4
	v_add_nc_u32_e32 v8, v9, v8
	v_mul_lo_u32 v9, s0, v4
	v_add_nc_u32_e32 v8, v8, v10
	v_mul_hi_u32 v10, v4, v9
	v_mul_lo_u32 v11, v4, v8
	v_mul_hi_u32 v12, v4, v8
	v_mul_hi_u32 v13, v7, v9
	v_mul_lo_u32 v9, v7, v9
	v_mul_hi_u32 v14, v7, v8
	v_mul_lo_u32 v8, v7, v8
	v_add_co_u32 v10, vcc_lo, v10, v11
	v_add_co_ci_u32_e32 v11, vcc_lo, 0, v12, vcc_lo
	v_add_co_u32 v9, vcc_lo, v10, v9
	v_add_co_ci_u32_e32 v9, vcc_lo, v11, v13, vcc_lo
	v_add_co_ci_u32_e32 v10, vcc_lo, 0, v14, vcc_lo
	v_add_co_u32 v8, vcc_lo, v9, v8
	v_add_co_ci_u32_e32 v9, vcc_lo, 0, v10, vcc_lo
	v_add_co_u32 v4, vcc_lo, v4, v8
	v_add_co_ci_u32_e32 v7, vcc_lo, v7, v9, vcc_lo
	v_mul_hi_u32 v8, s0, v4
	v_mul_lo_u32 v10, s30, v4
	v_mul_lo_u32 v9, s0, v7
	v_add_nc_u32_e32 v8, v8, v9
	v_mul_lo_u32 v9, s0, v4
	v_add_nc_u32_e32 v8, v8, v10
	v_mul_hi_u32 v10, v4, v9
	v_mul_lo_u32 v11, v4, v8
	v_mul_hi_u32 v12, v4, v8
	v_mul_hi_u32 v13, v7, v9
	v_mul_lo_u32 v9, v7, v9
	v_mul_hi_u32 v14, v7, v8
	v_mul_lo_u32 v8, v7, v8
	v_add_co_u32 v10, vcc_lo, v10, v11
	v_add_co_ci_u32_e32 v11, vcc_lo, 0, v12, vcc_lo
	v_add_co_u32 v9, vcc_lo, v10, v9
	v_add_co_ci_u32_e32 v9, vcc_lo, v11, v13, vcc_lo
	v_add_co_ci_u32_e32 v10, vcc_lo, 0, v14, vcc_lo
	v_add_co_u32 v8, vcc_lo, v9, v8
	v_add_co_ci_u32_e32 v9, vcc_lo, 0, v10, vcc_lo
	v_add_co_u32 v4, vcc_lo, v4, v8
	v_add_co_ci_u32_e32 v11, vcc_lo, v7, v9, vcc_lo
	v_mul_hi_u32 v13, v5, v4
	v_mad_u64_u32 v[9:10], null, v6, v4, 0
	v_mad_u64_u32 v[7:8], null, v5, v11, 0
	v_mad_u64_u32 v[11:12], null, v6, v11, 0
	v_add_co_u32 v4, vcc_lo, v13, v7
	v_add_co_ci_u32_e32 v7, vcc_lo, 0, v8, vcc_lo
	v_add_co_u32 v4, vcc_lo, v4, v9
	v_add_co_ci_u32_e32 v4, vcc_lo, v7, v10, vcc_lo
	v_add_co_ci_u32_e32 v7, vcc_lo, 0, v12, vcc_lo
	v_add_co_u32 v4, vcc_lo, v4, v11
	v_add_co_ci_u32_e32 v9, vcc_lo, 0, v7, vcc_lo
	v_mul_lo_u32 v10, s29, v4
	v_mad_u64_u32 v[7:8], null, s28, v4, 0
	v_mul_lo_u32 v11, s28, v9
	v_sub_co_u32 v7, vcc_lo, v5, v7
	v_add3_u32 v8, v8, v11, v10
	v_sub_nc_u32_e32 v10, v6, v8
	v_subrev_co_ci_u32_e64 v10, s0, s29, v10, vcc_lo
	v_add_co_u32 v11, s0, v4, 2
	v_add_co_ci_u32_e64 v12, s0, 0, v9, s0
	v_sub_co_u32 v13, s0, v7, s28
	v_sub_co_ci_u32_e32 v8, vcc_lo, v6, v8, vcc_lo
	v_subrev_co_ci_u32_e64 v10, s0, 0, v10, s0
	v_cmp_le_u32_e32 vcc_lo, s28, v13
	v_cmp_eq_u32_e64 s0, s29, v8
	v_cndmask_b32_e64 v13, 0, -1, vcc_lo
	v_cmp_le_u32_e32 vcc_lo, s29, v10
	v_cndmask_b32_e64 v14, 0, -1, vcc_lo
	v_cmp_le_u32_e32 vcc_lo, s28, v7
	;; [unrolled: 2-line block ×3, first 2 shown]
	v_cndmask_b32_e64 v15, 0, -1, vcc_lo
	v_cmp_eq_u32_e32 vcc_lo, s29, v10
	v_cndmask_b32_e64 v7, v15, v7, s0
	v_cndmask_b32_e32 v10, v14, v13, vcc_lo
	v_add_co_u32 v13, vcc_lo, v4, 1
	v_add_co_ci_u32_e32 v14, vcc_lo, 0, v9, vcc_lo
	v_cmp_ne_u32_e32 vcc_lo, 0, v10
	v_cndmask_b32_e32 v8, v14, v12, vcc_lo
	v_cndmask_b32_e32 v10, v13, v11, vcc_lo
	v_cmp_ne_u32_e32 vcc_lo, 0, v7
	v_cndmask_b32_e32 v19, v9, v8, vcc_lo
	v_cndmask_b32_e32 v18, v4, v10, vcc_lo
.LBB0_4:                                ;   in Loop: Header=BB0_2 Depth=1
	s_andn2_saveexec_b32 s0, s1
	s_cbranch_execz .LBB0_6
; %bb.5:                                ;   in Loop: Header=BB0_2 Depth=1
	v_cvt_f32_u32_e32 v4, s28
	s_sub_i32 s1, 0, s28
	v_mov_b32_e32 v19, v3
	v_rcp_iflag_f32_e32 v4, v4
	v_mul_f32_e32 v4, 0x4f7ffffe, v4
	v_cvt_u32_f32_e32 v4, v4
	v_mul_lo_u32 v7, s1, v4
	v_mul_hi_u32 v7, v4, v7
	v_add_nc_u32_e32 v4, v4, v7
	v_mul_hi_u32 v4, v5, v4
	v_mul_lo_u32 v7, v4, s28
	v_add_nc_u32_e32 v8, 1, v4
	v_sub_nc_u32_e32 v7, v5, v7
	v_subrev_nc_u32_e32 v9, s28, v7
	v_cmp_le_u32_e32 vcc_lo, s28, v7
	v_cndmask_b32_e32 v7, v7, v9, vcc_lo
	v_cndmask_b32_e32 v4, v4, v8, vcc_lo
	v_cmp_le_u32_e32 vcc_lo, s28, v7
	v_add_nc_u32_e32 v8, 1, v4
	v_cndmask_b32_e32 v18, v4, v8, vcc_lo
.LBB0_6:                                ;   in Loop: Header=BB0_2 Depth=1
	s_or_b32 exec_lo, exec_lo, s0
	v_mul_lo_u32 v4, v19, s28
	v_mul_lo_u32 v9, v18, s29
	s_load_dwordx2 s[0:1], s[22:23], 0x0
	v_mad_u64_u32 v[7:8], null, v18, s28, 0
	s_load_dwordx2 s[28:29], s[6:7], 0x0
	s_add_u32 s26, s26, 1
	s_addc_u32 s27, s27, 0
	s_add_u32 s6, s6, 8
	s_addc_u32 s7, s7, 0
	s_add_u32 s22, s22, 8
	v_add3_u32 v4, v8, v9, v4
	v_sub_co_u32 v5, vcc_lo, v5, v7
	s_addc_u32 s23, s23, 0
	s_add_u32 s24, s24, 8
	v_sub_co_ci_u32_e32 v4, vcc_lo, v6, v4, vcc_lo
	s_addc_u32 s25, s25, 0
	s_waitcnt lgkmcnt(0)
	v_mul_lo_u32 v6, s0, v4
	v_mul_lo_u32 v7, s1, v5
	v_mad_u64_u32 v[1:2], null, s0, v5, v[1:2]
	v_mul_lo_u32 v4, s28, v4
	v_mul_lo_u32 v8, s29, v5
	v_mad_u64_u32 v[16:17], null, s28, v5, v[16:17]
	v_cmp_ge_u64_e64 s0, s[26:27], s[10:11]
	v_add3_u32 v2, v7, v2, v6
	v_add3_u32 v17, v8, v17, v4
	s_and_b32 vcc_lo, exec_lo, s0
	s_cbranch_vccnz .LBB0_9
; %bb.7:                                ;   in Loop: Header=BB0_2 Depth=1
	v_mov_b32_e32 v5, v18
	v_mov_b32_e32 v6, v19
	s_branch .LBB0_2
.LBB0_8:
	v_mov_b32_e32 v17, v2
	v_mov_b32_e32 v19, v6
	;; [unrolled: 1-line block ×4, first 2 shown]
.LBB0_9:
	s_load_dwordx2 s[0:1], s[4:5], 0x28
	v_mul_hi_u32 v40, 0x4ec4ec5, v0
	s_lshl_b64 s[6:7], s[10:11], 3
                                        ; implicit-def: $sgpr10
                                        ; implicit-def: $vgpr20
                                        ; implicit-def: $vgpr21
                                        ; implicit-def: $vgpr22
                                        ; implicit-def: $vgpr23
                                        ; implicit-def: $vgpr24
                                        ; implicit-def: $vgpr25
                                        ; implicit-def: $vgpr26
                                        ; implicit-def: $vgpr5
                                        ; implicit-def: $vgpr7
                                        ; implicit-def: $vgpr29
	s_add_u32 s4, s18, s6
	s_addc_u32 s5, s19, s7
	s_waitcnt lgkmcnt(0)
	v_cmp_gt_u64_e32 vcc_lo, s[0:1], v[18:19]
	v_cmp_le_u64_e64 s0, s[0:1], v[18:19]
	s_and_saveexec_b32 s1, s0
	s_xor_b32 s0, exec_lo, s1
	s_cbranch_execz .LBB0_11
; %bb.10:
	v_mul_u32_u24_e32 v1, 52, v40
	s_mov_b32 s10, 0
                                        ; implicit-def: $vgpr40
	v_sub_nc_u32_e32 v20, v0, v1
                                        ; implicit-def: $vgpr0
                                        ; implicit-def: $vgpr1_vgpr2
	v_add_nc_u32_e32 v21, 52, v20
	v_add_nc_u32_e32 v22, 0x68, v20
	;; [unrolled: 1-line block ×9, first 2 shown]
.LBB0_11:
	s_or_saveexec_b32 s1, s0
	v_mov_b32_e32 v6, s10
	v_mov_b32_e32 v10, s10
	;; [unrolled: 1-line block ×13, first 2 shown]
                                        ; implicit-def: $vgpr39
                                        ; implicit-def: $vgpr27
                                        ; implicit-def: $vgpr38
                                        ; implicit-def: $vgpr15
                                        ; implicit-def: $vgpr74
                                        ; implicit-def: $vgpr14
                                        ; implicit-def: $vgpr75
                                        ; implicit-def: $vgpr11
                                        ; implicit-def: $vgpr71
                                        ; implicit-def: $vgpr32
                                        ; implicit-def: $vgpr70
                                        ; implicit-def: $vgpr31
                                        ; implicit-def: $vgpr72
                                        ; implicit-def: $vgpr30
                                        ; implicit-def: $vgpr73
                                        ; implicit-def: $vgpr28
                                        ; implicit-def: $vgpr69
                                        ; implicit-def: $vgpr33
                                        ; implicit-def: $vgpr56
                                        ; implicit-def: $vgpr34
                                        ; implicit-def: $vgpr63
                                        ; implicit-def: $vgpr35
                                        ; implicit-def: $vgpr67
                                        ; implicit-def: $vgpr36
                                        ; implicit-def: $vgpr68
                                        ; implicit-def: $vgpr37
	s_xor_b32 exec_lo, exec_lo, s1
	s_cbranch_execz .LBB0_13
; %bb.12:
	s_add_u32 s6, s16, s6
	s_addc_u32 s7, s17, s7
	v_mul_u32_u24_e32 v3, 52, v40
	s_load_dwordx2 s[6:7], s[6:7], 0x0
	v_sub_nc_u32_e32 v20, v0, v3
	v_lshlrev_b64 v[0:1], 2, v[1:2]
	v_mad_u64_u32 v[3:4], null, s20, v20, 0
	v_add_nc_u32_e32 v14, 0x2a4, v20
	v_add_nc_u32_e32 v21, 52, v20
	;; [unrolled: 1-line block ×5, first 2 shown]
	v_mad_u64_u32 v[5:6], null, s20, v14, 0
	v_mov_b32_e32 v2, v4
	v_mad_u64_u32 v[7:8], null, s20, v21, 0
	s_waitcnt lgkmcnt(0)
	v_mul_lo_u32 v4, s7, v18
	v_mul_lo_u32 v15, s6, v19
	v_mad_u64_u32 v[9:10], null, s6, v18, 0
	v_mad_u64_u32 v[11:12], null, s21, v20, v[2:3]
	v_mov_b32_e32 v2, v6
	v_mov_b32_e32 v6, v8
	v_mad_u64_u32 v[12:13], null, s20, v23, 0
	v_add3_u32 v10, v10, v15, v4
	v_mad_u64_u32 v[14:15], null, s21, v14, v[2:3]
	v_mov_b32_e32 v4, v11
	v_mad_u64_u32 v[24:25], null, s20, v22, 0
	v_lshlrev_b64 v[8:9], 2, v[9:10]
	v_mad_u64_u32 v[10:11], null, s21, v21, v[6:7]
	v_lshlrev_b64 v[3:4], 2, v[3:4]
	v_mov_b32_e32 v2, v13
	v_mov_b32_e32 v6, v14
	v_add_co_u32 v11, s0, s12, v8
	v_add_co_ci_u32_e64 v9, s0, s13, v9, s0
	v_mov_b32_e32 v8, v10
	v_add_co_u32 v54, s0, v11, v0
	v_add_co_ci_u32_e64 v55, s0, v9, v1, s0
	v_lshlrev_b64 v[0:1], 2, v[5:6]
	v_add_co_u32 v3, s0, v54, v3
	v_add_co_ci_u32_e64 v4, s0, v55, v4, s0
	v_add_nc_u32_e32 v38, 0x374, v20
	v_mad_u64_u32 v[5:6], null, s21, v23, v[2:3]
	v_mov_b32_e32 v2, v25
	v_lshlrev_b64 v[6:7], 2, v[7:8]
	v_mad_u64_u32 v[8:9], null, s20, v26, 0
	v_add_co_u32 v0, s0, v54, v0
	v_mov_b32_e32 v13, v5
	v_mad_u64_u32 v[10:11], null, s21, v22, v[2:3]
	v_add_nc_u32_e32 v23, 0x9c, v20
	v_add_co_ci_u32_e64 v1, s0, v55, v1, s0
	v_add_co_u32 v14, s0, v54, v6
	v_lshlrev_b64 v[5:6], 2, v[12:13]
	v_add_co_ci_u32_e64 v15, s0, v55, v7, s0
	v_mov_b32_e32 v2, v9
	v_mov_b32_e32 v25, v10
	v_mad_u64_u32 v[10:11], null, s20, v23, 0
	v_or_b32_e32 v7, 0x340, v20
	v_add_co_u32 v28, s0, v54, v5
	v_mad_u64_u32 v[12:13], null, s21, v26, v[2:3]
	v_add_co_ci_u32_e64 v29, s0, v55, v6, s0
	v_lshlrev_b64 v[5:6], 2, v[24:25]
	v_mad_u64_u32 v[25:26], null, s20, v7, 0
	v_mov_b32_e32 v2, v11
	v_mov_b32_e32 v9, v12
	v_add_nc_u32_e32 v24, 0xd0, v20
	v_mad_u64_u32 v[32:33], null, s20, v38, 0
	v_mad_u64_u32 v[11:12], null, s21, v23, v[2:3]
	v_mov_b32_e32 v2, v26
	v_add_co_u32 v12, s0, v54, v5
	v_add_co_ci_u32_e64 v13, s0, v55, v6, s0
	v_lshlrev_b64 v[5:6], 2, v[8:9]
	v_mad_u64_u32 v[7:8], null, s21, v7, v[2:3]
	v_mad_u64_u32 v[8:9], null, s20, v24, 0
	v_add_nc_u32_e32 v41, 0x410, v20
	v_add_co_u32 v30, s0, v54, v5
	v_add_co_ci_u32_e64 v31, s0, v55, v6, s0
	v_mov_b32_e32 v26, v7
	v_lshlrev_b64 v[5:6], 2, v[10:11]
	v_mov_b32_e32 v2, v9
	v_add_nc_u32_e32 v56, 0x23c, v20
	v_lshlrev_b64 v[9:10], 2, v[25:26]
	v_add_nc_u32_e32 v25, 0x104, v20
	v_mad_u64_u32 v[26:27], null, s21, v24, v[2:3]
	v_mov_b32_e32 v2, v33
	v_add_co_u32 v34, s0, v54, v5
	v_add_co_ci_u32_e64 v35, s0, v55, v6, s0
	v_add_co_u32 v36, s0, v54, v9
	v_mad_u64_u32 v[5:6], null, s21, v38, v[2:3]
	v_add_co_ci_u32_e64 v37, s0, v55, v10, s0
	s_clause 0x7
	global_load_dword v6, v[3:4], off
	global_load_dword v27, v[0:1], off
	;; [unrolled: 1-line block ×8, first 2 shown]
	v_mad_u64_u32 v[38:39], null, s20, v25, 0
	v_mov_b32_e32 v9, v26
	v_add_nc_u32_e32 v34, 0x3a8, v20
	v_add_nc_u32_e32 v26, 0x138, v20
	v_mov_b32_e32 v33, v5
	v_lshlrev_b64 v[1:2], 2, v[8:9]
	v_mov_b32_e32 v0, v39
	v_mad_u64_u32 v[28:29], null, s20, v26, 0
	v_lshlrev_b64 v[12:13], 2, v[32:33]
	v_mad_u64_u32 v[7:8], null, s21, v25, v[0:1]
	v_mad_u64_u32 v[8:9], null, s20, v34, 0
	v_add_co_u32 v0, s0, v54, v1
	v_add_co_ci_u32_e64 v1, s0, v55, v2, s0
	v_mov_b32_e32 v39, v7
	v_add_nc_u32_e32 v7, 0x3dc, v20
	v_mov_b32_e32 v2, v9
	v_mad_u64_u32 v[30:31], null, s20, v7, 0
	v_mov_b32_e32 v5, v31
	s_waitcnt vmcnt(7)
	v_mad_u64_u32 v[35:36], null, s21, v7, v[5:6]
	v_add_nc_u32_e32 v5, 0x1a0, v20
	s_waitcnt vmcnt(2)
	v_lshrrev_b32_e32 v74, 16, v14
	s_waitcnt vmcnt(1)
	v_mad_u64_u32 v[32:33], null, s21, v34, v[2:3]
	v_mov_b32_e32 v2, v29
	v_add_co_u32 v33, s0, v54, v12
	v_add_co_ci_u32_e64 v34, s0, v55, v13, s0
	v_lshlrev_b64 v[12:13], 2, v[38:39]
	v_mov_b32_e32 v9, v32
	v_mad_u64_u32 v[31:32], null, s21, v26, v[2:3]
	v_add_nc_u32_e32 v32, 0x16c, v20
	v_mad_u64_u32 v[38:39], null, s20, v41, 0
	v_add_co_u32 v36, s0, v54, v12
	v_add_co_ci_u32_e64 v37, s0, v55, v13, s0
	v_mad_u64_u32 v[12:13], null, s20, v32, 0
	v_lshlrev_b64 v[7:8], 2, v[8:9]
	v_mov_b32_e32 v9, v39
	v_mov_b32_e32 v29, v31
	;; [unrolled: 1-line block ×3, first 2 shown]
	v_add_nc_u32_e32 v35, 0x478, v20
	s_waitcnt vmcnt(0)
	v_lshrrev_b32_e32 v75, 16, v11
	v_mov_b32_e32 v2, v13
	v_lshlrev_b64 v[28:29], 2, v[28:29]
	v_add_co_u32 v7, s0, v54, v7
	v_lshlrev_b64 v[30:31], 2, v[30:31]
	v_mad_u64_u32 v[39:40], null, s21, v32, v[2:3]
	v_mad_u64_u32 v[40:41], null, s21, v41, v[9:10]
	;; [unrolled: 1-line block ×3, first 2 shown]
	v_add_co_ci_u32_e64 v8, s0, v55, v8, s0
	v_add_co_u32 v28, s0, v54, v28
	v_mov_b32_e32 v13, v39
	v_mov_b32_e32 v39, v40
	;; [unrolled: 1-line block ×3, first 2 shown]
	v_add_nc_u32_e32 v9, 0x444, v20
	v_add_co_ci_u32_e64 v29, s0, v55, v29, s0
	v_add_co_u32 v43, s0, v54, v30
	v_add_co_ci_u32_e64 v44, s0, v55, v31, s0
	v_lshlrev_b64 v[30:31], 2, v[38:39]
	v_mad_u64_u32 v[38:39], null, s21, v5, v[2:3]
	v_mad_u64_u32 v[39:40], null, s20, v9, 0
	v_lshlrev_b64 v[12:13], 2, v[12:13]
	v_mad_u64_u32 v[52:53], null, s20, v35, 0
	v_mov_b32_e32 v42, v38
	v_add_nc_u32_e32 v38, 0x1d4, v20
	v_add_co_u32 v45, s0, v54, v12
	v_mov_b32_e32 v2, v40
	v_add_co_ci_u32_e64 v46, s0, v55, v13, s0
	v_add_co_u32 v47, s0, v54, v30
	v_add_co_ci_u32_e64 v48, s0, v55, v31, s0
	v_mad_u64_u32 v[49:50], null, s21, v9, v[2:3]
	s_clause 0x7
	global_load_dword v13, v[0:1], off
	global_load_dword v32, v[33:34], off
	;; [unrolled: 1-line block ×8, first 2 shown]
	v_mad_u64_u32 v[50:51], null, s20, v38, 0
	v_lshlrev_b64 v[1:2], 2, v[41:42]
	v_mov_b32_e32 v0, v53
	v_add_nc_u32_e32 v7, 0x208, v20
	v_mov_b32_e32 v40, v49
	v_add_nc_u32_e32 v48, 0x4e0, v20
	v_mad_u64_u32 v[44:45], null, s20, v56, 0
	v_mov_b32_e32 v29, v51
	v_mad_u64_u32 v[33:34], null, s21, v35, v[0:1]
	v_lshlrev_b64 v[34:35], 2, v[39:40]
	v_add_co_u32 v0, s0, v54, v1
	v_add_co_ci_u32_e64 v1, s0, v55, v2, s0
	v_mad_u64_u32 v[46:47], null, s20, v48, 0
	v_mov_b32_e32 v53, v33
	v_add_co_u32 v33, s0, v54, v34
	v_add_co_ci_u32_e64 v34, s0, v55, v35, s0
	global_load_dword v33, v[33:34], off
	s_waitcnt vmcnt(7)
	v_lshrrev_b32_e32 v71, 16, v32
	s_waitcnt vmcnt(5)
	v_lshrrev_b32_e32 v70, 16, v31
	s_waitcnt vmcnt(3)
	v_mad_u64_u32 v[36:37], null, s21, v38, v[29:30]
	v_mad_u64_u32 v[37:38], null, s20, v7, 0
	v_add_nc_u32_e32 v29, 0x4ac, v20
	v_lshrrev_b32_e32 v72, 16, v30
	s_waitcnt vmcnt(1)
	v_lshrrev_b32_e32 v73, 16, v28
	v_mov_b32_e32 v51, v36
	v_mad_u64_u32 v[39:40], null, s20, v29, 0
	v_mov_b32_e32 v2, v38
	v_lshlrev_b64 v[35:36], 2, v[52:53]
	v_mad_u64_u32 v[41:42], null, s21, v7, v[2:3]
	v_lshlrev_b64 v[42:43], 2, v[50:51]
	v_mov_b32_e32 v2, v40
	v_add_co_u32 v34, s0, v54, v35
	v_add_co_ci_u32_e64 v35, s0, v55, v36, s0
	v_mov_b32_e32 v38, v41
	v_mad_u64_u32 v[40:41], null, s21, v29, v[2:3]
	v_add_co_u32 v41, s0, v54, v42
	v_mov_b32_e32 v2, v47
	v_add_co_ci_u32_e64 v42, s0, v55, v43, s0
	v_add_nc_u32_e32 v43, 0x514, v20
	v_add_nc_u32_e32 v29, 0x270, v20
	v_mad_u64_u32 v[47:48], null, s21, v48, v[2:3]
	global_load_dword v34, v[34:35], off
	v_mad_u64_u32 v[48:49], null, s20, v43, 0
	v_lshlrev_b64 v[35:36], 2, v[37:38]
	v_mov_b32_e32 v37, v45
	v_mad_u64_u32 v[50:51], null, s20, v29, 0
	v_lshlrev_b64 v[46:47], 2, v[46:47]
	s_waitcnt vmcnt(1)
	v_lshrrev_b32_e32 v69, 16, v33
	v_mov_b32_e32 v2, v49
	v_add_co_u32 v52, s0, v54, v35
	v_add_co_ci_u32_e64 v53, s0, v55, v36, s0
	v_lshlrev_b64 v[35:36], 2, v[39:40]
	v_mad_u64_u32 v[37:38], null, s21, v56, v[37:38]
	v_mad_u64_u32 v[39:40], null, s21, v43, v[2:3]
	v_mov_b32_e32 v38, v51
	v_add_co_u32 v35, s0, v54, v35
	v_add_co_ci_u32_e64 v36, s0, v55, v36, s0
	v_mov_b32_e32 v45, v37
	v_mad_u64_u32 v[37:38], null, s21, v29, v[38:39]
	v_mov_b32_e32 v49, v39
	v_add_co_u32 v38, s0, v54, v46
	v_lshlrev_b64 v[43:44], 2, v[44:45]
	v_add_co_ci_u32_e64 v39, s0, v55, v47, s0
	v_mov_b32_e32 v51, v37
	v_lshlrev_b64 v[45:46], 2, v[48:49]
	global_load_dword v35, v[35:36], off
	v_add_co_u32 v43, s0, v54, v43
	global_load_dword v36, v[38:39], off
	v_lshlrev_b64 v[37:38], 2, v[50:51]
	v_add_co_ci_u32_e64 v44, s0, v55, v44, s0
	v_add_co_u32 v39, s0, v54, v45
	v_add_co_ci_u32_e64 v40, s0, v55, v46, s0
	v_add_co_u32 v46, s0, v54, v37
	v_add_co_ci_u32_e64 v47, s0, v55, v38, s0
	s_clause 0x5
	global_load_dword v37, v[39:40], off
	global_load_dword v55, v[0:1], off
	;; [unrolled: 1-line block ×6, first 2 shown]
	v_lshrrev_b32_e32 v39, 16, v27
	v_lshrrev_b32_e32 v38, 16, v15
	s_waitcnt vmcnt(8)
	v_lshrrev_b32_e32 v56, 16, v34
	s_waitcnt vmcnt(7)
	;; [unrolled: 2-line block ×4, first 2 shown]
	v_lshrrev_b32_e32 v68, 16, v37
.LBB0_13:
	s_or_b32 exec_lo, exec_lo, s1
	v_sub_f16_e32 v1, v6, v27
	v_sub_f16_e32 v15, v10, v15
	;; [unrolled: 1-line block ×3, first 2 shown]
	v_lshrrev_b32_e32 v0, 16, v6
	v_lshrrev_b32_e32 v2, 16, v10
	v_fma_f16 v6, v6, 2.0, -v1
	v_fma_f16 v10, v10, 2.0, -v15
	v_sub_f16_e32 v11, v3, v11
	v_fma_f16 v27, v4, 2.0, -v14
	v_sub_f16_e32 v32, v13, v32
	v_sub_f16_e32 v31, v12, v31
	;; [unrolled: 1-line block ×3, first 2 shown]
	v_fma_f16 v38, v3, 2.0, -v11
	v_sub_f16_e32 v30, v9, v30
	v_pack_b32_f16 v1, v6, v1
	v_lshl_add_u32 v76, v20, 2, 0
	v_pack_b32_f16 v6, v10, v15
	v_lshl_add_u32 v77, v21, 2, 0
	;; [unrolled: 2-line block ×3, first 2 shown]
	v_sub_f16_e32 v43, v0, v39
	v_fma_f16 v39, v13, 2.0, -v32
	v_sub_f16_e32 v41, v8, v28
	v_fma_f16 v40, v12, 2.0, -v31
	s_waitcnt vmcnt(4)
	v_sub_f16_e32 v46, v55, v33
	s_waitcnt vmcnt(2)
	v_sub_f16_e32 v35, v45, v35
	v_fma_f16 v49, v9, 2.0, -v30
	ds_write_b32 v76, v1
	ds_write_b32 v77, v6
	;; [unrolled: 1-line block ×3, first 2 shown]
	v_lshl_add_u32 v78, v23, 2, 0
	v_pack_b32_f16 v10, v38, v11
	v_sub_f16_e32 v48, v42, v34
	v_fma_f16 v50, v8, 2.0, -v41
	s_waitcnt vmcnt(1)
	v_sub_f16_e32 v36, v51, v36
	v_lshl_add_u32 v28, v24, 2, 0
	v_pack_b32_f16 v11, v39, v32
	v_lshl_add_u32 v79, v25, 2, 0
	v_pack_b32_f16 v14, v40, v31
	v_fma_f16 v52, v55, 2.0, -v46
	v_fma_f16 v54, v45, 2.0, -v35
	ds_write_b32 v78, v10
	v_lshl_add_u32 v33, v26, 2, 0
	v_pack_b32_f16 v10, v49, v30
	s_load_dwordx2 s[4:5], s[4:5], 0x0
	v_fma_f16 v53, v42, 2.0, -v48
	v_fma_f16 v1, v51, 2.0, -v36
	ds_write_b32 v28, v11
	ds_write_b32 v79, v14
	v_pack_b32_f16 v11, v50, v41
	s_waitcnt vmcnt(0)
	v_sub_f16_e32 v37, v47, v37
	v_lshl_add_u32 v80, v5, 2, 0
	v_pack_b32_f16 v14, v52, v46
	ds_write_b32 v33, v10
	ds_write_b32 v76, v11 offset:1456
	v_lshl_add_u32 v81, v7, 2, 0
	v_pack_b32_f16 v10, v54, v35
	v_pack_b32_f16 v15, v53, v48
	;; [unrolled: 1-line block ×3, first 2 shown]
	v_fma_f16 v0, v0, 2.0, -v43
	v_fma_f16 v6, v47, 2.0, -v37
	v_lshlrev_b32_e32 v32, 1, v24
	v_lshlrev_b32_e32 v34, 1, v26
	;; [unrolled: 1-line block ×3, first 2 shown]
	ds_write_b32 v80, v14
	ds_write_b32 v76, v15 offset:1872
	v_lshl_add_u32 v82, v29, 2, 0
	ds_write_b32 v81, v10
	ds_write_b32 v76, v1 offset:2288
	v_lshlrev_b32_e32 v1, 1, v29
	v_lshrrev_b32_e32 v4, 16, v4
	v_fma_f16 v2, v2, 2.0, -v44
	v_lshlrev_b32_e32 v31, 1, v22
	v_lshlrev_b32_e32 v7, 1, v7
	v_pack_b32_f16 v6, v6, v37
	v_lshl_add_u32 v29, v20, 1, 0
	v_sub_nc_u32_e32 v40, v33, v34
	v_sub_nc_u32_e32 v41, v80, v5
	v_sub_nc_u32_e32 v38, v82, v1
	v_sub_nc_u32_e32 v36, v28, v32
	v_pack_b32_f16 v1, v0, v43
	v_lshrrev_b32_e32 v3, 16, v3
	v_sub_f16_e32 v5, v4, v74
	v_sub_nc_u32_e32 v35, v27, v31
	v_pack_b32_f16 v2, v2, v44
	v_sub_nc_u32_e32 v39, v81, v7
	v_lshl_add_u32 v30, v21, 1, 0
	ds_write_b32 v82, v6
	s_waitcnt lgkmcnt(0)
	s_barrier
	buffer_gl0_inv
	ds_read_u16 v11, v40
	ds_read_u16 v10, v41
	;; [unrolled: 1-line block ×5, first 2 shown]
	ds_read_u16 v50, v29 offset:312
	ds_read_u16 v49, v29 offset:520
	ds_read_u16 v43, v29 offset:728
	ds_read_u16 v14, v29 offset:936
	ds_read_u16 v58, v29 offset:1144
	ds_read_u16 v57, v29 offset:1456
	ds_read_u16 v59, v29 offset:1352
	ds_read_u16 v52, v29 offset:2288
	ds_read_u16 v46, v29 offset:2184
	ds_read_u16 v53, v29 offset:2080
	ds_read_u16 v15, v29 offset:1976
	ds_read_u16 v54, v29 offset:1872
	ds_read_u16 v60, v29 offset:1768
	ds_read_u16 v64, v29 offset:1664
	ds_read_u16 v61, v29 offset:1560
	ds_read_u16 v37, v36
	ds_read_u16 v48, v35
	;; [unrolled: 1-line block ×3, first 2 shown]
	ds_read_u16 v62, v29 offset:2600
	ds_read_u16 v66, v29 offset:2496
	ds_read_u16 v65, v29 offset:2392
	s_waitcnt lgkmcnt(0)
	s_barrier
	v_sub_f16_e32 v74, v3, v75
	buffer_gl0_inv
	v_fma_f16 v4, v4, 2.0, -v5
	ds_write_b32 v76, v1
	ds_write_b32 v77, v2
	v_lshrrev_b32_e32 v2, 16, v13
	v_fma_f16 v1, v3, 2.0, -v74
	v_lshrrev_b32_e32 v8, 16, v8
	v_pack_b32_f16 v3, v4, v5
	v_lshrrev_b32_e32 v4, 16, v12
	v_lshrrev_b32_e32 v5, 16, v9
	v_sub_f16_e32 v9, v2, v71
	v_pack_b32_f16 v1, v1, v74
	ds_write_b32 v27, v3
	v_sub_f16_e32 v12, v4, v70
	v_sub_f16_e32 v3, v8, v73
	v_fma_f16 v2, v2, 2.0, -v9
	v_sub_f16_e32 v13, v5, v72
	ds_write_b32 v78, v1
	v_fma_f16 v4, v4, 2.0, -v12
	v_cmp_gt_u32_e64 s0, 26, v20
	v_pack_b32_f16 v1, v2, v9
	v_fma_f16 v2, v8, 2.0, -v3
	v_fma_f16 v5, v5, 2.0, -v13
	v_lshrrev_b32_e32 v8, 16, v55
	v_pack_b32_f16 v4, v4, v12
	ds_write_b32 v28, v1
	v_pack_b32_f16 v1, v2, v3
	v_pack_b32_f16 v5, v5, v13
	v_sub_f16_e32 v2, v8, v69
	v_lshrrev_b32_e32 v3, 16, v42
	ds_write_b32 v79, v4
	ds_write_b32 v33, v5
	ds_write_b32 v76, v1 offset:1456
	v_lshrrev_b32_e32 v1, 16, v45
	v_lshrrev_b32_e32 v4, 16, v51
	v_fma_f16 v5, v8, 2.0, -v2
	v_sub_f16_e32 v8, v3, v56
	v_lshrrev_b32_e32 v9, 16, v47
	v_sub_f16_e32 v12, v1, v63
	v_sub_f16_e32 v13, v4, v67
	v_pack_b32_f16 v2, v5, v2
	v_fma_f16 v5, v3, 2.0, -v8
	v_sub_f16_e32 v42, v9, v68
	v_and_b32_e32 v3, 1, v20
	v_fma_f16 v1, v1, 2.0, -v12
	v_fma_f16 v4, v4, 2.0, -v13
	ds_write_b32 v80, v2
	v_fma_f16 v2, v9, 2.0, -v42
	v_pack_b32_f16 v5, v5, v8
	v_mul_u32_u24_e32 v8, 12, v3
	v_pack_b32_f16 v1, v1, v12
	v_pack_b32_f16 v4, v4, v13
	;; [unrolled: 1-line block ×3, first 2 shown]
	ds_write_b32 v76, v5 offset:1872
	ds_write_b32 v81, v1
	ds_write_b32 v76, v4 offset:2288
	v_lshlrev_b32_e32 v1, 2, v8
	ds_write_b32 v82, v2
	s_waitcnt lgkmcnt(0)
	s_barrier
	buffer_gl0_inv
	s_clause 0x2
	global_load_dwordx4 v[68:71], v1, s[8:9]
	global_load_dwordx4 v[72:75], v1, s[8:9] offset:16
	global_load_dwordx4 v[76:79], v1, s[8:9] offset:32
	ds_read_u16 v51, v40
	ds_read_u16 v56, v41
	ds_read_u16 v12, v36
	ds_read_u16 v80, v35
	ds_read_u16 v81, v39
	ds_read_u16 v82, v38
	ds_read_u16 v83, v29 offset:312
	ds_read_u16 v84, v29 offset:520
	;; [unrolled: 1-line block ×15, first 2 shown]
	ds_read_u16 v2, v30
	ds_read_u16 v98, v29 offset:2600
	ds_read_u16 v99, v29 offset:2496
	;; [unrolled: 1-line block ×3, first 2 shown]
	ds_read_u16 v101, v29
	s_waitcnt vmcnt(0) lgkmcnt(0)
	s_barrier
	buffer_gl0_inv
	v_mul_f16_sdwa v102, v80, v68 dst_sel:DWORD dst_unused:UNUSED_PAD src0_sel:DWORD src1_sel:WORD_1
	v_mul_f16_sdwa v103, v48, v68 dst_sel:DWORD dst_unused:UNUSED_PAD src0_sel:DWORD src1_sel:WORD_1
	;; [unrolled: 1-line block ×10, first 2 shown]
	v_fma_f16 v102, v48, v68, -v102
	v_fmac_f16_e32 v103, v80, v68
	v_fma_f16 v104, v37, v69, -v104
	v_fmac_f16_e32 v105, v12, v69
	;; [unrolled: 2-line block ×5, first 2 shown]
	v_add_f16_e32 v69, v44, v102
	v_add_f16_e32 v70, v101, v103
	v_mul_f16_sdwa v108, v56, v71 dst_sel:DWORD dst_unused:UNUSED_PAD src0_sel:DWORD src1_sel:WORD_1
	v_mul_f16_sdwa v109, v10, v71 dst_sel:DWORD dst_unused:UNUSED_PAD src0_sel:DWORD src1_sel:WORD_1
	;; [unrolled: 1-line block ×3, first 2 shown]
	v_add_f16_e32 v69, v69, v104
	v_add_f16_e32 v70, v70, v105
	v_mul_f16_sdwa v110, v83, v68 dst_sel:DWORD dst_unused:UNUSED_PAD src0_sel:DWORD src1_sel:WORD_1
	v_mul_f16_sdwa v47, v50, v68 dst_sel:DWORD dst_unused:UNUSED_PAD src0_sel:DWORD src1_sel:WORD_1
	;; [unrolled: 1-line block ×7, first 2 shown]
	v_fma_f16 v108, v10, v71, -v108
	v_fmac_f16_e32 v109, v56, v71
	v_fmac_f16_e32 v80, v99, v79
	v_add_f16_e32 v69, v69, v106
	v_add_f16_e32 v70, v70, v107
	v_mul_f16_sdwa v115, v82, v73 dst_sel:DWORD dst_unused:UNUSED_PAD src0_sel:DWORD src1_sel:WORD_1
	v_mul_f16_sdwa v45, v6, v73 dst_sel:DWORD dst_unused:UNUSED_PAD src0_sel:DWORD src1_sel:WORD_1
	;; [unrolled: 1-line block ×20, first 2 shown]
	v_fma_f16 v51, v50, v68, -v110
	v_mul_f16_sdwa v110, v98, v79 dst_sel:DWORD dst_unused:UNUSED_PAD src0_sel:DWORD src1_sel:WORD_1
	v_fmac_f16_e32 v47, v83, v68
	v_mul_f16_sdwa v50, v62, v79 dst_sel:DWORD dst_unused:UNUSED_PAD src0_sel:DWORD src1_sel:WORD_1
	v_fma_f16 v68, v7, v72, -v114
	v_fmac_f16_e32 v63, v81, v72
	v_fma_f16 v7, v61, v74, -v120
	v_fma_f16 v11, v60, v75, -v121
	v_fma_f16 v60, v66, v79, -v128
	v_sub_f16_e32 v61, v103, v80
	v_add_f16_e32 v69, v69, v108
	v_add_f16_e32 v70, v70, v109
	v_mul_f16_sdwa v116, v89, v74 dst_sel:DWORD dst_unused:UNUSED_PAD src0_sel:DWORD src1_sel:WORD_1
	v_mul_f16_sdwa v55, v57, v74 dst_sel:DWORD dst_unused:UNUSED_PAD src0_sel:DWORD src1_sel:WORD_1
	;; [unrolled: 1-line block ×4, first 2 shown]
	v_fma_f16 v56, v6, v73, -v115
	v_fmac_f16_e32 v45, v82, v73
	v_fma_f16 v64, v64, v75, -v117
	v_fmac_f16_e32 v67, v96, v75
	v_fma_f16 v10, v58, v72, -v118
	v_fma_f16 v6, v59, v73, -v119
	v_fmac_f16_e32 v8, v90, v75
	v_fma_f16 v58, v54, v76, -v122
	v_fmac_f16_e32 v123, v95, v76
	;; [unrolled: 2-line block ×8, first 2 shown]
	v_add_f16_e32 v62, v102, v60
	v_mul_f16_e32 v75, 0xb770, v61
	v_mul_f16_e32 v76, 0xba95, v61
	;; [unrolled: 1-line block ×6, first 2 shown]
	v_add_f16_e32 v69, v69, v68
	v_add_f16_e32 v70, v70, v63
	v_fma_f16 v57, v57, v74, -v116
	v_fmac_f16_e32 v55, v89, v74
	v_fma_f16 v89, v62, 0x3b15, -v75
	v_fmac_f16_e32 v75, 0x3b15, v62
	;; [unrolled: 2-line block ×7, first 2 shown]
	v_add_f16_e32 v69, v69, v56
	v_add_f16_e32 v70, v70, v45
	;; [unrolled: 1-line block ×16, first 2 shown]
	v_mul_f16_sdwa v113, v86, v71 dst_sel:DWORD dst_unused:UNUSED_PAD src0_sel:DWORD src1_sel:WORD_1
	v_mul_f16_sdwa v9, v14, v71 dst_sel:DWORD dst_unused:UNUSED_PAD src0_sel:DWORD src1_sel:WORD_1
	v_sub_f16_e32 v65, v102, v60
	v_add_f16_e32 v44, v44, v64
	v_add_f16_e32 v70, v70, v67
	v_fma_f16 v14, v14, v71, -v113
	v_fmac_f16_e32 v9, v86, v71
	v_fmac_f16_e32 v1, v88, v73
	v_add_f16_e32 v44, v44, v58
	v_add_f16_e32 v70, v70, v123
	;; [unrolled: 1-line block ×3, first 2 shown]
	v_sub_f16_e32 v71, v105, v127
	v_sub_f16_e32 v73, v104, v54
	v_mul_f16_e32 v81, 0xb770, v65
	v_add_f16_e32 v44, v44, v59
	v_add_f16_e32 v70, v70, v125
	v_fmac_f16_e32 v5, v87, v72
	v_fmac_f16_e32 v4, v97, v74
	v_add_f16_e32 v72, v104, v54
	v_add_f16_e32 v74, v105, v127
	v_mul_f16_e32 v82, 0xba95, v65
	v_mul_f16_e32 v83, 0xbbf1, v65
	;; [unrolled: 1-line block ×7, first 2 shown]
	v_fmamk_f16 v62, v66, 0x3b15, v81
	v_fma_f16 v81, v66, 0x3b15, -v81
	v_add_f16_e32 v44, v44, v54
	v_add_f16_e32 v54, v70, v127
	v_fmamk_f16 v95, v66, 0x388b, v82
	v_fma_f16 v82, v66, 0x388b, -v82
	v_fmamk_f16 v96, v66, 0x2fb7, v83
	v_fma_f16 v83, v66, 0x2fb7, -v83
	;; [unrolled: 2-line block ×5, first 2 shown]
	v_fma_f16 v66, v72, 0x388b, -v86
	v_fmamk_f16 v100, v74, 0x388b, v87
	v_fmac_f16_e32 v86, 0x388b, v72
	v_fma_f16 v87, v74, 0x388b, -v87
	v_add_f16_e32 v69, v101, v81
	v_add_f16_e32 v44, v44, v60
	v_mul_f16_e32 v60, 0xbb7b, v73
	v_add_f16_e32 v54, v54, v80
	v_mul_f16_e32 v80, 0xb3a8, v71
	v_mul_f16_e32 v88, 0xbb7b, v71
	v_add_f16_e32 v81, v101, v95
	v_add_f16_e32 v82, v101, v82
	v_add_f16_e32 v70, v86, v75
	v_add_f16_e32 v69, v87, v69
	v_fmamk_f16 v86, v74, 0xb5ac, v60
	v_fma_f16 v60, v74, 0xb5ac, -v60
	v_fma_f16 v87, v72, 0xbbc4, -v80
	;; [unrolled: 1-line block ×3, first 2 shown]
	v_fmac_f16_e32 v88, 0xb5ac, v72
	v_add_f16_e32 v81, v86, v81
	v_mul_f16_e32 v86, 0xb3a8, v73
	v_add_f16_e32 v60, v60, v82
	v_add_f16_e32 v82, v87, v91
	v_mul_f16_e32 v87, 0x394e, v71
	v_add_f16_e32 v83, v101, v83
	v_add_f16_e32 v75, v75, v90
	;; [unrolled: 1-line block ×3, first 2 shown]
	v_fmamk_f16 v88, v74, 0xbbc4, v86
	v_fmac_f16_e32 v80, 0xbbc4, v72
	v_fma_f16 v86, v74, 0xbbc4, -v86
	v_fma_f16 v90, v72, 0xb9fd, -v87
	v_add_f16_e32 v66, v66, v89
	v_mul_f16_e32 v89, 0x394e, v73
	v_add_f16_e32 v77, v80, v77
	v_add_f16_e32 v80, v86, v83
	;; [unrolled: 1-line block ×3, first 2 shown]
	v_fmac_f16_e32 v87, 0xb9fd, v72
	v_mul_f16_e32 v90, 0x3bf1, v71
	v_mul_f16_e32 v91, 0x3bf1, v73
	v_add_f16_e32 v95, v101, v96
	v_add_f16_e32 v96, v101, v97
	;; [unrolled: 1-line block ×4, first 2 shown]
	v_fmamk_f16 v83, v74, 0xb9fd, v89
	v_fma_f16 v89, v74, 0xb9fd, -v89
	v_add_f16_e32 v78, v87, v78
	v_fma_f16 v87, v72, 0x2fb7, -v90
	v_fmamk_f16 v92, v74, 0x2fb7, v91
	v_fmac_f16_e32 v90, 0x2fb7, v72
	v_mul_f16_e32 v71, 0x3770, v71
	v_mul_f16_e32 v73, 0x3770, v73
	v_add_f16_e32 v85, v101, v85
	v_add_f16_e32 v84, v89, v84
	v_add_f16_e32 v89, v92, v97
	v_add_f16_e32 v79, v90, v79
	v_fma_f16 v90, v72, 0x3b15, -v71
	v_fmac_f16_e32 v71, 0x3b15, v72
	v_fma_f16 v72, v74, 0x2fb7, -v91
	v_fmamk_f16 v92, v74, 0x3b15, v73
	v_fma_f16 v73, v74, 0x3b15, -v73
	v_add_f16_e32 v74, v106, v59
	v_sub_f16_e32 v59, v106, v59
	v_add_f16_e32 v62, v101, v62
	v_sub_f16_e32 v91, v107, v125
	v_add_f16_e32 v72, v72, v85
	v_add_f16_e32 v85, v90, v94
	;; [unrolled: 1-line block ×3, first 2 shown]
	v_mul_f16_e32 v94, 0xbbf1, v59
	v_add_f16_e32 v65, v101, v65
	v_add_f16_e32 v62, v100, v62
	;; [unrolled: 1-line block ×3, first 2 shown]
	v_mul_f16_e32 v93, 0xbbf1, v91
	v_add_f16_e32 v61, v71, v61
	v_fmamk_f16 v71, v90, 0x2fb7, v94
	v_add_f16_e32 v88, v88, v95
	v_add_f16_e32 v65, v73, v65
	v_fma_f16 v95, v74, 0x2fb7, -v93
	v_mul_f16_e32 v73, 0xb3a8, v91
	v_fmac_f16_e32 v93, 0x2fb7, v74
	v_fma_f16 v94, v90, 0x2fb7, -v94
	v_add_f16_e32 v62, v71, v62
	v_mul_f16_e32 v71, 0xb3a8, v59
	v_add_f16_e32 v66, v95, v66
	v_fma_f16 v95, v74, 0xbbc4, -v73
	v_add_f16_e32 v70, v93, v70
	v_add_f16_e32 v69, v94, v69
	v_mul_f16_e32 v93, 0x3b7b, v91
	v_fmamk_f16 v94, v90, 0xbbc4, v71
	v_add_f16_e32 v75, v95, v75
	v_fma_f16 v71, v90, 0xbbc4, -v71
	v_fmac_f16_e32 v73, 0xbbc4, v74
	v_fma_f16 v95, v74, 0xb5ac, -v93
	v_add_f16_e32 v81, v94, v81
	v_mul_f16_e32 v94, 0x3b7b, v59
	v_add_f16_e32 v60, v71, v60
	v_add_f16_e32 v83, v83, v96
	;; [unrolled: 1-line block ×3, first 2 shown]
	v_mul_f16_e32 v95, 0x3770, v59
	v_fmamk_f16 v82, v90, 0xb5ac, v94
	v_add_f16_e32 v73, v73, v76
	v_mul_f16_e32 v76, 0x3770, v91
	v_fmac_f16_e32 v93, 0xb5ac, v74
	v_fma_f16 v94, v90, 0xb5ac, -v94
	v_add_f16_e32 v82, v82, v88
	v_fmamk_f16 v88, v90, 0x3b15, v95
	v_fma_f16 v96, v74, 0x3b15, -v76
	v_add_f16_e32 v77, v93, v77
	v_add_f16_e32 v80, v94, v80
	v_fmac_f16_e32 v76, 0x3b15, v74
	v_mul_f16_e32 v93, 0xba95, v91
	v_mul_f16_e32 v94, 0xba95, v59
	v_add_f16_e32 v83, v88, v83
	v_fma_f16 v88, v90, 0x3b15, -v95
	v_add_f16_e32 v76, v76, v78
	v_fma_f16 v78, v74, 0x388b, -v93
	v_fmamk_f16 v95, v90, 0x388b, v94
	v_fmac_f16_e32 v93, 0x388b, v74
	v_add_f16_e32 v84, v88, v84
	v_mul_f16_e32 v88, 0xb94e, v91
	v_mul_f16_e32 v59, 0xb94e, v59
	v_add_f16_e32 v78, v78, v87
	v_add_f16_e32 v87, v95, v89
	;; [unrolled: 1-line block ×3, first 2 shown]
	v_fma_f16 v89, v74, 0xb9fd, -v88
	v_fmac_f16_e32 v88, 0xb9fd, v74
	v_fma_f16 v74, v90, 0x388b, -v94
	v_fmamk_f16 v93, v90, 0xb9fd, v59
	v_fma_f16 v59, v90, 0xb9fd, -v59
	v_add_f16_e32 v90, v108, v58
	v_sub_f16_e32 v58, v108, v58
	v_sub_f16_e32 v91, v109, v123
	v_add_f16_e32 v72, v74, v72
	v_add_f16_e32 v74, v89, v85
	;; [unrolled: 1-line block ×3, first 2 shown]
	v_mul_f16_e32 v89, 0xbb7b, v58
	v_add_f16_e32 v98, v101, v99
	v_mul_f16_e32 v94, 0xbb7b, v91
	v_add_f16_e32 v59, v59, v65
	v_add_f16_e32 v61, v88, v61
	v_fmamk_f16 v65, v85, 0xb5ac, v89
	v_add_f16_e32 v92, v92, v98
	v_fma_f16 v95, v90, 0xb5ac, -v94
	v_mul_f16_e32 v88, 0x394e, v91
	v_fmac_f16_e32 v94, 0xb5ac, v90
	v_fma_f16 v89, v85, 0xb5ac, -v89
	v_add_f16_e32 v62, v65, v62
	v_mul_f16_e32 v65, 0x394e, v58
	v_add_f16_e32 v92, v93, v92
	v_fma_f16 v93, v90, 0xb9fd, -v88
	v_add_f16_e32 v70, v94, v70
	v_add_f16_e32 v69, v89, v69
	v_mul_f16_e32 v89, 0x3770, v91
	v_fmamk_f16 v94, v85, 0xb9fd, v65
	v_add_f16_e32 v75, v93, v75
	v_fmac_f16_e32 v88, 0xb9fd, v90
	v_fma_f16 v65, v85, 0xb9fd, -v65
	v_fma_f16 v93, v90, 0x3b15, -v89
	v_add_f16_e32 v81, v94, v81
	v_mul_f16_e32 v94, 0x3770, v58
	v_add_f16_e32 v73, v88, v73
	v_add_f16_e32 v60, v65, v60
	;; [unrolled: 1-line block ×3, first 2 shown]
	v_mul_f16_e32 v71, 0xbbf1, v91
	v_fmamk_f16 v88, v85, 0x3b15, v94
	v_fma_f16 v93, v85, 0x3b15, -v94
	v_mul_f16_e32 v94, 0xbbf1, v58
	v_fmac_f16_e32 v89, 0x3b15, v90
	v_add_f16_e32 v66, v95, v66
	v_add_f16_e32 v82, v88, v82
	v_fma_f16 v95, v90, 0x2fb7, -v71
	v_fmamk_f16 v88, v85, 0x2fb7, v94
	v_add_f16_e32 v77, v89, v77
	v_add_f16_e32 v80, v93, v80
	v_fmac_f16_e32 v71, 0x2fb7, v90
	v_mul_f16_e32 v89, 0x33a8, v91
	v_mul_f16_e32 v93, 0x33a8, v58
	v_add_f16_e32 v83, v88, v83
	v_fma_f16 v88, v85, 0x2fb7, -v94
	v_add_f16_e32 v71, v71, v76
	v_fma_f16 v76, v90, 0xbbc4, -v89
	v_fmamk_f16 v94, v85, 0xbbc4, v93
	v_fmac_f16_e32 v89, 0xbbc4, v90
	v_add_f16_e32 v84, v88, v84
	v_mul_f16_e32 v88, 0x3a95, v91
	v_mul_f16_e32 v58, 0x3a95, v58
	v_add_f16_e32 v76, v76, v78
	v_add_f16_e32 v78, v94, v87
	;; [unrolled: 1-line block ×3, first 2 shown]
	v_fma_f16 v87, v90, 0x388b, -v88
	v_fmac_f16_e32 v88, 0x388b, v90
	v_fma_f16 v89, v85, 0xbbc4, -v93
	v_sub_f16_e32 v90, v63, v67
	v_fmamk_f16 v91, v85, 0x388b, v58
	v_fma_f16 v58, v85, 0x388b, -v58
	v_add_f16_e32 v85, v68, v64
	v_sub_f16_e32 v64, v68, v64
	v_mul_f16_e32 v68, 0xb94e, v90
	v_add_f16_e32 v63, v63, v67
	v_add_f16_e32 v74, v87, v74
	;; [unrolled: 1-line block ×3, first 2 shown]
	v_mul_f16_e32 v67, 0xb94e, v64
	v_fma_f16 v87, v85, 0xb9fd, -v68
	v_fmac_f16_e32 v68, 0xb9fd, v85
	v_add_f16_e32 v61, v88, v61
	v_add_f16_e32 v86, v96, v86
	v_fmamk_f16 v59, v63, 0xb9fd, v67
	v_add_f16_e32 v66, v87, v66
	v_mul_f16_e32 v87, 0x3bf1, v90
	v_fma_f16 v67, v63, 0xb9fd, -v67
	v_add_f16_e32 v68, v68, v70
	v_add_f16_e32 v59, v59, v62
	v_mul_f16_e32 v62, 0x3bf1, v64
	v_fma_f16 v88, v85, 0x2fb7, -v87
	v_add_f16_e32 v67, v67, v69
	v_mul_f16_e32 v69, 0xba95, v90
	v_fmac_f16_e32 v87, 0x2fb7, v85
	v_fmamk_f16 v70, v63, 0x2fb7, v62
	v_add_f16_e32 v75, v88, v75
	v_fma_f16 v62, v63, 0x2fb7, -v62
	v_fma_f16 v88, v85, 0x388b, -v69
	v_add_f16_e32 v73, v87, v73
	v_add_f16_e32 v70, v70, v81
	v_mul_f16_e32 v81, 0xba95, v64
	v_add_f16_e32 v60, v62, v60
	v_add_f16_e32 v62, v88, v65
	v_mul_f16_e32 v65, 0x33a8, v90
	v_fmac_f16_e32 v69, 0x388b, v85
	v_fmamk_f16 v87, v63, 0x388b, v81
	v_fma_f16 v81, v63, 0x388b, -v81
	v_mul_f16_e32 v88, 0x33a8, v64
	v_add_f16_e32 v86, v95, v86
	v_add_f16_e32 v72, v89, v72
	;; [unrolled: 1-line block ×3, first 2 shown]
	v_fma_f16 v91, v85, 0xbbc4, -v65
	v_add_f16_e32 v69, v69, v77
	v_add_f16_e32 v77, v81, v80
	v_fmamk_f16 v80, v63, 0xbbc4, v88
	v_add_f16_e32 v82, v87, v82
	v_add_f16_e32 v81, v91, v86
	v_fmac_f16_e32 v65, 0xbbc4, v85
	v_mul_f16_e32 v86, 0x3770, v90
	v_mul_f16_e32 v87, 0x3770, v64
	v_add_f16_e32 v80, v80, v83
	v_fma_f16 v83, v63, 0xbbc4, -v88
	v_add_f16_e32 v65, v65, v71
	v_fma_f16 v71, v85, 0x3b15, -v86
	v_fmamk_f16 v88, v63, 0x3b15, v87
	v_fmac_f16_e32 v86, 0x3b15, v85
	v_add_f16_e32 v83, v83, v84
	v_mul_f16_e32 v84, 0xbb7b, v90
	v_add_f16_e32 v71, v71, v76
	v_add_f16_e32 v76, v88, v78
	;; [unrolled: 1-line block ×3, first 2 shown]
	v_mul_f16_e32 v64, 0xbb7b, v64
	v_fma_f16 v79, v85, 0xb5ac, -v84
	v_fmac_f16_e32 v84, 0xb5ac, v85
	v_sub_f16_e32 v85, v45, v55
	v_fma_f16 v86, v63, 0x3b15, -v87
	v_fmamk_f16 v87, v63, 0xb5ac, v64
	v_fma_f16 v63, v63, 0xb5ac, -v64
	v_add_f16_e32 v88, v56, v57
	v_mul_f16_e32 v64, 0xb3a8, v85
	v_sub_f16_e32 v90, v56, v57
	v_add_f16_e32 v74, v79, v74
	v_add_f16_e32 v79, v45, v55
	;; [unrolled: 1-line block ×3, first 2 shown]
	v_fma_f16 v45, v88, 0xbbc4, -v64
	v_mul_f16_e32 v55, 0xb3a8, v90
	v_add_f16_e32 v89, v63, v58
	v_fmac_f16_e32 v64, 0xbbc4, v88
	v_mul_f16_e32 v63, 0x3770, v90
	v_add_f16_e32 v84, v84, v61
	v_add_f16_e32 v45, v45, v66
	v_fmamk_f16 v56, v79, 0xbbc4, v55
	v_mul_f16_e32 v61, 0x3770, v85
	v_fma_f16 v57, v79, 0xbbc4, -v55
	v_add_f16_e32 v55, v64, v68
	v_fmamk_f16 v64, v79, 0x3b15, v63
	v_mul_f16_e32 v66, 0xb94e, v85
	v_add_f16_e32 v59, v56, v59
	v_fma_f16 v56, v88, 0x3b15, -v61
	v_add_f16_e32 v57, v57, v67
	v_fmac_f16_e32 v61, 0x3b15, v88
	v_fma_f16 v67, v79, 0x3b15, -v63
	v_add_f16_e32 v63, v64, v70
	v_fma_f16 v64, v88, 0xb9fd, -v66
	v_mul_f16_e32 v68, 0xb94e, v90
	v_add_f16_e32 v86, v86, v72
	v_add_f16_e32 v58, v56, v75
	;; [unrolled: 1-line block ×4, first 2 shown]
	v_mul_f16_e32 v72, 0x3a95, v85
	v_add_f16_e32 v62, v64, v62
	v_fmamk_f16 v60, v79, 0xb9fd, v68
	v_fmac_f16_e32 v66, 0xb9fd, v88
	v_fma_f16 v64, v79, 0xb9fd, -v68
	v_mul_f16_e32 v73, 0x3a95, v90
	v_fma_f16 v70, v88, 0x388b, -v72
	v_add_f16_e32 v68, v60, v82
	v_add_f16_e32 v60, v66, v69
	;; [unrolled: 1-line block ×3, first 2 shown]
	v_fmamk_f16 v66, v79, 0x388b, v73
	v_fmac_f16_e32 v72, 0x388b, v88
	v_mul_f16_e32 v75, 0xbb7b, v85
	v_mul_f16_e32 v77, 0xbb7b, v90
	v_add_f16_e32 v64, v70, v81
	v_add_f16_e32 v70, v66, v80
	;; [unrolled: 1-line block ×3, first 2 shown]
	v_fma_f16 v66, v88, 0xb5ac, -v75
	v_fmamk_f16 v72, v79, 0xb5ac, v77
	v_fmac_f16_e32 v75, 0xb5ac, v88
	v_mul_f16_e32 v80, 0x3bf1, v85
	v_fma_f16 v69, v79, 0x388b, -v73
	v_add_f16_e32 v66, v66, v71
	v_add_f16_e32 v71, v72, v76
	v_mul_f16_e32 v73, 0x3bf1, v90
	v_add_f16_e32 v72, v75, v78
	v_fma_f16 v75, v88, 0x2fb7, -v80
	v_sub_f16_e32 v78, v47, v50
	v_fma_f16 v76, v79, 0xb5ac, -v77
	v_fmac_f16_e32 v80, 0x2fb7, v88
	v_fmamk_f16 v77, v79, 0x2fb7, v73
	v_fma_f16 v79, v79, 0x2fb7, -v73
	v_add_f16_e32 v73, v75, v74
	v_add_f16_e32 v75, v51, v53
	v_mul_f16_e32 v81, 0xb770, v78
	v_add_f16_e32 v69, v69, v83
	v_add_f16_e32 v77, v77, v87
	;; [unrolled: 1-line block ×3, first 2 shown]
	v_mul_f16_e32 v82, 0xba95, v78
	v_add_f16_e32 v80, v79, v89
	v_fma_f16 v79, v75, 0x3b15, -v81
	v_mul_f16_e32 v83, 0xbbf1, v78
	v_mul_f16_e32 v85, 0xbb7b, v78
	;; [unrolled: 1-line block ×4, first 2 shown]
	v_sub_f16_e32 v89, v42, v48
	v_add_f16_e32 v76, v76, v86
	v_fmac_f16_e32 v81, 0x3b15, v75
	v_fma_f16 v84, v75, 0x388b, -v82
	v_fmac_f16_e32 v82, 0x388b, v75
	v_fma_f16 v86, v75, 0x2fb7, -v83
	;; [unrolled: 2-line block ×4, first 2 shown]
	v_fmac_f16_e32 v87, 0xb9fd, v75
	v_add_f16_e32 v91, v49, v52
	v_mul_f16_e32 v92, 0xba95, v89
	v_fma_f16 v93, v75, 0xbbc4, -v78
	v_fmac_f16_e32 v78, 0xbbc4, v75
	v_add_f16_e32 v75, v0, v79
	v_mul_f16_e32 v79, 0xbb7b, v89
	v_fma_f16 v94, v91, 0x388b, -v92
	v_add_f16_e32 v81, v0, v81
	v_fmac_f16_e32 v92, 0x388b, v91
	v_add_f16_e32 v84, v0, v84
	v_fma_f16 v95, v91, 0xb5ac, -v79
	v_add_f16_e32 v82, v0, v82
	v_fmac_f16_e32 v79, 0xb5ac, v91
	v_add_f16_e32 v75, v94, v75
	v_mul_f16_e32 v94, 0xb3a8, v89
	v_add_f16_e32 v81, v92, v81
	v_add_f16_e32 v84, v95, v84
	v_mul_f16_e32 v92, 0x394e, v89
	v_mul_f16_e32 v95, 0x3bf1, v89
	v_add_f16_e32 v79, v79, v82
	v_add_f16_e32 v82, v0, v86
	v_fma_f16 v86, v91, 0xbbc4, -v94
	v_add_f16_e32 v88, v0, v88
	v_fma_f16 v96, v91, 0xb9fd, -v92
	;; [unrolled: 2-line block ×3, first 2 shown]
	v_add_f16_e32 v83, v0, v83
	v_fmac_f16_e32 v94, 0xbbc4, v91
	v_add_f16_e32 v85, v0, v85
	v_fmac_f16_e32 v92, 0xb9fd, v91
	v_add_f16_e32 v82, v86, v82
	v_add_f16_e32 v86, v96, v88
	v_add_f16_e32 v88, v97, v90
	v_sub_f16_e32 v90, v13, v37
	v_add_f16_e32 v83, v94, v83
	v_add_f16_e32 v85, v92, v85
	;; [unrolled: 1-line block ×3, first 2 shown]
	v_mul_f16_e32 v89, 0x3770, v89
	v_fmac_f16_e32 v95, 0x2fb7, v91
	v_add_f16_e32 v92, v0, v93
	v_add_f16_e32 v93, v43, v46
	v_mul_f16_e32 v94, 0xbbf1, v90
	v_fma_f16 v96, v91, 0x3b15, -v89
	v_add_f16_e32 v87, v95, v87
	v_fmac_f16_e32 v89, 0x3b15, v91
	v_add_f16_e32 v78, v0, v78
	v_fma_f16 v91, v93, 0x2fb7, -v94
	v_fmac_f16_e32 v94, 0x2fb7, v93
	v_mul_f16_e32 v95, 0xb3a8, v90
	v_add_f16_e32 v92, v96, v92
	v_add_f16_e32 v78, v89, v78
	v_add_f16_e32 v75, v91, v75
	v_mul_f16_e32 v89, 0x3b7b, v90
	v_add_f16_e32 v81, v94, v81
	v_fma_f16 v91, v93, 0xbbc4, -v95
	v_mul_f16_e32 v94, 0x3770, v90
	v_fmac_f16_e32 v95, 0xbbc4, v93
	v_fma_f16 v96, v93, 0xb5ac, -v89
	v_fmac_f16_e32 v89, 0xb5ac, v93
	v_add_f16_e32 v84, v91, v84
	v_fma_f16 v91, v93, 0x3b15, -v94
	v_add_f16_e32 v79, v95, v79
	v_add_f16_e32 v97, v14, v15
	;; [unrolled: 1-line block ×3, first 2 shown]
	v_mul_f16_e32 v89, 0xba95, v90
	v_add_f16_e32 v86, v91, v86
	v_sub_f16_e32 v91, v9, v12
	v_mul_f16_e32 v90, 0xb94e, v90
	v_add_f16_e32 v82, v96, v82
	v_fma_f16 v95, v93, 0x388b, -v89
	v_fmac_f16_e32 v89, 0x388b, v93
	v_mul_f16_e32 v98, 0xbb7b, v91
	v_fmac_f16_e32 v94, 0x3b15, v93
	v_fma_f16 v96, v93, 0xb9fd, -v90
	v_fmac_f16_e32 v90, 0xb9fd, v93
	v_add_f16_e32 v87, v89, v87
	v_fma_f16 v89, v97, 0xb5ac, -v98
	v_mul_f16_e32 v93, 0x394e, v91
	v_add_f16_e32 v85, v94, v85
	v_add_f16_e32 v78, v90, v78
	v_mul_f16_e32 v94, 0xbbf1, v91
	v_add_f16_e32 v75, v89, v75
	v_mul_f16_e32 v89, 0x3770, v91
	v_fma_f16 v90, v97, 0xb9fd, -v93
	v_add_f16_e32 v88, v95, v88
	v_fmac_f16_e32 v98, 0xb5ac, v97
	v_fmac_f16_e32 v93, 0xb9fd, v97
	v_fma_f16 v95, v97, 0x3b15, -v89
	v_fmac_f16_e32 v89, 0x3b15, v97
	v_add_f16_e32 v84, v90, v84
	v_fma_f16 v90, v97, 0x2fb7, -v94
	v_add_f16_e32 v92, v96, v92
	v_add_f16_e32 v81, v98, v81
	;; [unrolled: 1-line block ×3, first 2 shown]
	v_mul_f16_e32 v89, 0x33a8, v91
	v_add_f16_e32 v86, v90, v86
	v_mul_f16_e32 v90, 0x3a95, v91
	v_sub_f16_e32 v91, v5, v8
	v_add_f16_e32 v79, v93, v79
	v_fma_f16 v93, v97, 0xbbc4, -v89
	v_fmac_f16_e32 v89, 0xbbc4, v97
	v_add_f16_e32 v96, v10, v11
	v_mul_f16_e32 v98, 0xb94e, v91
	v_add_f16_e32 v82, v95, v82
	v_fmac_f16_e32 v94, 0x2fb7, v97
	v_add_f16_e32 v87, v89, v87
	v_fma_f16 v95, v97, 0x388b, -v90
	v_fma_f16 v89, v96, 0xb9fd, -v98
	v_fmac_f16_e32 v90, 0x388b, v97
	v_add_f16_e32 v88, v93, v88
	v_mul_f16_e32 v93, 0x3bf1, v91
	v_add_f16_e32 v85, v94, v85
	v_add_f16_e32 v75, v89, v75
	v_mul_f16_e32 v89, 0xba95, v91
	v_add_f16_e32 v92, v95, v92
	v_add_f16_e32 v78, v90, v78
	v_fma_f16 v90, v96, 0x2fb7, -v93
	v_mul_f16_e32 v94, 0x33a8, v91
	v_fmac_f16_e32 v93, 0x2fb7, v96
	v_fma_f16 v95, v96, 0x388b, -v89
	v_fmac_f16_e32 v89, 0x388b, v96
	v_add_f16_e32 v84, v90, v84
	v_fma_f16 v90, v96, 0xbbc4, -v94
	v_add_f16_e32 v79, v93, v79
	v_mul_f16_e32 v93, 0x3770, v91
	v_add_f16_e32 v83, v89, v83
	v_mul_f16_e32 v89, 0xbb7b, v91
	v_fmac_f16_e32 v94, 0xbbc4, v96
	v_sub_f16_e32 v91, v1, v4
	v_add_f16_e32 v0, v0, v51
	v_fmac_f16_e32 v98, 0xb9fd, v96
	v_add_f16_e32 v82, v95, v82
	v_add_f16_e32 v86, v90, v86
	v_fma_f16 v90, v96, 0x3b15, -v93
	v_fmac_f16_e32 v93, 0x3b15, v96
	v_fma_f16 v95, v96, 0xb5ac, -v89
	v_fmac_f16_e32 v89, 0xb5ac, v96
	v_add_f16_e32 v85, v94, v85
	v_add_f16_e32 v94, v6, v7
	v_mul_f16_e32 v96, 0xb3a8, v91
	v_add_f16_e32 v0, v0, v49
	v_add_f16_e32 v87, v93, v87
	;; [unrolled: 1-line block ×3, first 2 shown]
	v_mul_f16_e32 v90, 0x3770, v91
	v_fma_f16 v93, v94, 0xbbc4, -v96
	v_add_f16_e32 v0, v0, v43
	v_add_f16_e32 v92, v95, v92
	;; [unrolled: 1-line block ×3, first 2 shown]
	v_fma_f16 v89, v94, 0x3b15, -v90
	v_add_f16_e32 v75, v93, v75
	v_mul_f16_e32 v93, 0xb94e, v91
	v_add_f16_e32 v0, v0, v14
	v_add_f16_e32 v81, v98, v81
	v_fmac_f16_e32 v96, 0xbbc4, v94
	v_add_f16_e32 v84, v89, v84
	v_fma_f16 v95, v94, 0xb9fd, -v93
	v_fmac_f16_e32 v93, 0xb9fd, v94
	v_add_f16_e32 v0, v0, v10
	v_mul_f16_e32 v89, 0x3a95, v91
	v_fmac_f16_e32 v90, 0x3b15, v94
	v_add_f16_e32 v81, v96, v81
	v_add_f16_e32 v83, v93, v83
	v_lshrrev_b32_e32 v93, 1, v20
	v_add_f16_e32 v0, v0, v6
	v_fma_f16 v96, v94, 0x388b, -v89
	v_add_f16_e32 v79, v90, v79
	v_mul_f16_e32 v90, 0xbb7b, v91
	v_mul_f16_e32 v91, 0x3bf1, v91
	v_fmac_f16_e32 v89, 0x388b, v94
	v_mul_u32_u24_e32 v93, 26, v93
	v_add_f16_e32 v0, v0, v7
	v_add_f16_e32 v86, v96, v86
	v_fma_f16 v96, v94, 0x2fb7, -v91
	v_fmac_f16_e32 v91, 0x2fb7, v94
	v_add_f16_e32 v85, v89, v85
	v_or_b32_e32 v89, v93, v3
	v_add_f16_e32 v0, v0, v11
	v_add_f16_e32 v82, v95, v82
	;; [unrolled: 1-line block ×3, first 2 shown]
	v_fma_f16 v95, v94, 0xb5ac, -v90
	v_lshl_add_u32 v91, v89, 1, 0
	v_lshrrev_b32_e32 v89, 1, v21
	v_add_f16_e32 v0, v0, v15
	v_fmac_f16_e32 v90, 0xb5ac, v94
	v_sub_f16_e32 v51, v51, v53
	ds_write_b16 v91, v44
	v_mul_lo_u32 v44, v89, 26
	v_add_f16_e32 v0, v0, v46
	v_add_f16_e32 v87, v90, v87
	;; [unrolled: 1-line block ×4, first 2 shown]
	ds_write_b16 v91, v45 offset:4
	v_add_f16_e32 v0, v0, v52
	ds_write_b16 v91, v58 offset:8
	ds_write_b16 v91, v62 offset:12
	;; [unrolled: 1-line block ×4, first 2 shown]
	v_or_b32_e32 v3, v44, v3
	ds_write_b16 v91, v73 offset:24
	ds_write_b16 v91, v74 offset:28
	;; [unrolled: 1-line block ×3, first 2 shown]
	v_sub_f16_e32 v49, v49, v52
	v_add_f16_e32 v44, v0, v53
	v_mul_f16_e32 v53, 0xb770, v51
	v_lshl_add_u32 v0, v3, 1, 0
	v_add_f16_e32 v3, v2, v47
	ds_write_b16 v91, v65 offset:36
	ds_write_b16 v91, v60 offset:40
	;; [unrolled: 1-line block ×4, first 2 shown]
	ds_write_b16 v0, v44
	ds_write_b16 v0, v75 offset:4
	ds_write_b16 v0, v84 offset:8
	;; [unrolled: 1-line block ×7, first 2 shown]
	v_add_f16_e32 v3, v3, v42
	ds_write_b16 v0, v87 offset:32
	ds_write_b16 v0, v85 offset:36
	;; [unrolled: 1-line block ×5, first 2 shown]
	s_waitcnt lgkmcnt(0)
	s_barrier
	v_add_f16_e32 v3, v3, v13
	buffer_gl0_inv
	ds_read_u16 v82, v40
	ds_read_u16 v88, v41
	;; [unrolled: 1-line block ×5, first 2 shown]
	ds_read_u16 v75, v29 offset:312
	ds_read_u16 v74, v29 offset:520
	ds_read_u16 v73, v29 offset:728
	ds_read_u16 v66, v29 offset:936
	ds_read_u16 v65, v29 offset:1144
	ds_read_u16 v87, v29 offset:1456
	ds_read_u16 v64, v29 offset:1352
	ds_read_u16 v78, v29 offset:2288
	ds_read_u16 v55, v29 offset:2184
	ds_read_u16 v83, v29 offset:2080
	ds_read_u16 v58, v29 offset:1976
	ds_read_u16 v85, v29 offset:1872
	ds_read_u16 v62, v29 offset:1768
	ds_read_u16 v89, v29 offset:1664
	ds_read_u16 v72, v29 offset:1560
	v_add_f16_e32 v3, v3, v9
	ds_read_u16 v86, v36
	ds_read_u16 v90, v35
	;; [unrolled: 1-line block ×3, first 2 shown]
	ds_read_u16 v56, v29 offset:2600
	ds_read_u16 v79, v29 offset:2496
	;; [unrolled: 1-line block ×3, first 2 shown]
	s_waitcnt lgkmcnt(0)
	s_barrier
	buffer_gl0_inv
	v_add_f16_e32 v3, v3, v5
	ds_write_b16 v91, v54
	ds_write_b16 v91, v59 offset:4
	ds_write_b16 v91, v63 offset:8
	ds_write_b16 v91, v68 offset:12
	ds_write_b16 v91, v70 offset:16
	ds_write_b16 v91, v71 offset:20
	ds_write_b16 v91, v77 offset:24
	ds_write_b16 v91, v80 offset:28
	ds_write_b16 v91, v76 offset:32
	ds_write_b16 v91, v69 offset:36
	ds_write_b16 v91, v67 offset:40
	v_add_f16_e32 v3, v3, v1
	v_add_f16_e32 v47, v47, v50
	ds_write_b16 v91, v61 offset:44
	ds_write_b16 v91, v57 offset:48
	v_mul_f16_e32 v54, 0xba95, v51
	v_mul_f16_e32 v57, 0xbbf1, v51
	v_add_f16_e32 v3, v3, v4
	v_mul_f16_e32 v61, 0xbb7b, v51
	v_mul_f16_e32 v67, 0xb94e, v51
	v_fmamk_f16 v59, v47, 0x388b, v54
	v_fma_f16 v54, v47, 0x388b, -v54
	v_add_f16_e32 v3, v3, v8
	v_fmamk_f16 v63, v47, 0x2fb7, v57
	v_mul_f16_e32 v51, 0xb3a8, v51
	v_fmamk_f16 v68, v47, 0xb5ac, v61
	v_fmamk_f16 v69, v47, 0xb9fd, v67
	v_add_f16_e32 v3, v3, v12
	v_add_f16_e32 v42, v42, v48
	v_fma_f16 v57, v47, 0x2fb7, -v57
	v_fma_f16 v61, v47, 0xb5ac, -v61
	v_fma_f16 v67, v47, 0xb9fd, -v67
	v_add_f16_e32 v3, v3, v37
	v_fmamk_f16 v70, v47, 0xbbc4, v51
	v_add_f16_e32 v52, v2, v59
	v_add_f16_e32 v59, v2, v68
	;; [unrolled: 1-line block ×4, first 2 shown]
	v_mul_f16_e32 v48, 0xba95, v49
	v_add_f16_e32 v61, v2, v61
	v_add_f16_e32 v67, v2, v67
	;; [unrolled: 1-line block ×4, first 2 shown]
	v_fmamk_f16 v50, v47, 0x3b15, v53
	v_fma_f16 v53, v47, 0x3b15, -v53
	v_fma_f16 v47, v47, 0xbbc4, -v51
	v_fmamk_f16 v68, v42, 0x388b, v48
	v_fma_f16 v48, v42, 0x388b, -v48
	v_add_f16_e32 v50, v2, v50
	v_add_f16_e32 v51, v2, v53
	;; [unrolled: 1-line block ×5, first 2 shown]
	v_mul_f16_e32 v69, 0xbb7b, v49
	v_add_f16_e32 v2, v2, v47
	v_add_f16_e32 v47, v68, v50
	v_mul_f16_e32 v68, 0xb3a8, v49
	v_add_f16_e32 v48, v48, v51
	v_fmamk_f16 v50, v42, 0xb5ac, v69
	v_fma_f16 v51, v42, 0xb5ac, -v69
	v_mul_f16_e32 v69, 0x394e, v49
	v_sub_f16_e32 v43, v43, v46
	v_mul_f16_e32 v46, 0x3770, v49
	v_add_f16_e32 v50, v50, v52
	v_fmamk_f16 v52, v42, 0xbbc4, v68
	v_fma_f16 v68, v42, 0xbbc4, -v68
	v_add_f16_e32 v51, v51, v53
	v_fmamk_f16 v53, v42, 0xb9fd, v69
	v_fma_f16 v69, v42, 0xb9fd, -v69
	v_add_f16_e32 v52, v52, v54
	v_add_f16_e32 v54, v68, v57
	v_mul_f16_e32 v57, 0x3bf1, v49
	v_add_f16_e32 v13, v13, v37
	v_mul_f16_e32 v37, 0xbbf1, v43
	v_add_f16_e32 v53, v53, v59
	v_add_f16_e32 v59, v69, v61
	v_fmamk_f16 v49, v42, 0x2fb7, v57
	v_fma_f16 v57, v42, 0x2fb7, -v57
	v_fmamk_f16 v61, v42, 0x3b15, v46
	v_fma_f16 v42, v42, 0x3b15, -v46
	v_sub_f16_e32 v14, v14, v15
	v_add_f16_e32 v46, v49, v63
	v_add_f16_e32 v49, v57, v67
	v_fmamk_f16 v57, v13, 0x2fb7, v37
	v_mul_f16_e32 v63, 0xb3a8, v43
	v_add_f16_e32 v2, v42, v2
	v_fma_f16 v37, v13, 0x2fb7, -v37
	v_mul_f16_e32 v15, 0xb94e, v43
	v_add_f16_e32 v42, v57, v47
	v_fmamk_f16 v47, v13, 0xbbc4, v63
	v_mul_f16_e32 v57, 0x3b7b, v43
	v_add_f16_e32 v37, v37, v48
	v_fma_f16 v48, v13, 0xbbc4, -v63
	v_mul_f16_e32 v63, 0x3770, v43
	v_add_f16_e32 v47, v47, v50
	v_fmamk_f16 v50, v13, 0xb5ac, v57
	v_fma_f16 v57, v13, 0xb5ac, -v57
	v_add_f16_e32 v9, v9, v12
	v_mul_f16_e32 v12, 0xbb7b, v14
	v_add_f16_e32 v48, v48, v51
	v_add_f16_e32 v50, v50, v52
	;; [unrolled: 1-line block ×3, first 2 shown]
	v_mul_f16_e32 v54, 0xba95, v43
	v_fmamk_f16 v51, v13, 0x3b15, v63
	v_fma_f16 v63, v13, 0x3b15, -v63
	v_fmamk_f16 v57, v13, 0xb9fd, v15
	v_sub_f16_e32 v10, v10, v11
	v_fmamk_f16 v43, v13, 0x388b, v54
	v_fma_f16 v54, v13, 0x388b, -v54
	v_fma_f16 v13, v13, 0xb9fd, -v15
	v_add_f16_e32 v51, v51, v53
	v_mul_f16_e32 v11, 0x3a95, v14
	v_add_f16_e32 v15, v43, v46
	v_add_f16_e32 v43, v54, v49
	v_fmamk_f16 v46, v9, 0xb5ac, v12
	v_mul_f16_e32 v49, 0x394e, v14
	v_add_f16_e32 v2, v13, v2
	v_fma_f16 v12, v9, 0xb5ac, -v12
	v_add_f16_e32 v5, v5, v8
	v_add_f16_e32 v13, v46, v42
	v_fmamk_f16 v42, v9, 0xb9fd, v49
	v_mul_f16_e32 v46, 0x3770, v14
	v_add_f16_e32 v12, v12, v37
	v_fma_f16 v37, v9, 0xb9fd, -v49
	v_mul_f16_e32 v49, 0xbbf1, v14
	v_add_f16_e32 v42, v42, v47
	v_fmamk_f16 v47, v9, 0x3b15, v46
	v_mul_f16_e32 v8, 0xb94e, v10
	v_add_f16_e32 v37, v37, v48
	v_fmamk_f16 v48, v9, 0x2fb7, v49
	v_fma_f16 v46, v9, 0x3b15, -v46
	v_add_f16_e32 v47, v47, v50
	v_mul_f16_e32 v50, 0x33a8, v14
	v_fma_f16 v49, v9, 0x2fb7, -v49
	v_add_f16_e32 v48, v48, v51
	v_fmamk_f16 v51, v9, 0x388b, v11
	v_add_f16_e32 v46, v46, v52
	v_fmamk_f16 v14, v9, 0xbbc4, v50
	v_fma_f16 v50, v9, 0xbbc4, -v50
	v_fma_f16 v9, v9, 0x388b, -v11
	v_sub_f16_e32 v6, v6, v7
	v_add_f16_e32 v61, v61, v70
	v_add_f16_e32 v11, v14, v15
	;; [unrolled: 1-line block ×3, first 2 shown]
	v_fmamk_f16 v15, v5, 0xb9fd, v8
	v_mul_f16_e32 v43, 0x3bf1, v10
	v_add_f16_e32 v2, v9, v2
	v_fma_f16 v8, v5, 0xb9fd, -v8
	v_mul_f16_e32 v7, 0xbb7b, v10
	v_add_f16_e32 v9, v15, v13
	v_fmamk_f16 v13, v5, 0x2fb7, v43
	v_mul_f16_e32 v15, 0xba95, v10
	v_add_f16_e32 v8, v8, v12
	v_fma_f16 v12, v5, 0x2fb7, -v43
	v_mul_f16_e32 v43, 0x33a8, v10
	v_add_f16_e32 v13, v13, v42
	v_fmamk_f16 v42, v5, 0x388b, v15
	v_fma_f16 v15, v5, 0x388b, -v15
	v_add_f16_e32 v1, v1, v4
	v_mul_f16_e32 v4, 0xb3a8, v6
	v_add_f16_e32 v54, v57, v61
	v_add_f16_e32 v12, v12, v37
	;; [unrolled: 1-line block ×3, first 2 shown]
	v_mul_f16_e32 v46, 0x3770, v10
	v_fmamk_f16 v37, v5, 0xbbc4, v43
	v_fma_f16 v43, v5, 0xbbc4, -v43
	v_add_f16_e32 v42, v42, v47
	v_fmamk_f16 v47, v5, 0xb5ac, v7
	v_fmamk_f16 v10, v5, 0x3b15, v46
	v_fma_f16 v46, v5, 0x3b15, -v46
	v_fma_f16 v5, v5, 0xb5ac, -v7
	v_add_f16_e32 v50, v51, v54
	v_add_f16_e32 v37, v37, v48
	;; [unrolled: 1-line block ×3, first 2 shown]
	v_fmamk_f16 v11, v1, 0xbbc4, v4
	v_add_f16_e32 v10, v46, v14
	v_mul_f16_e32 v46, 0x3770, v6
	v_fma_f16 v4, v1, 0xbbc4, -v4
	v_add_f16_e32 v2, v5, v2
	v_add_f16_e32 v5, v11, v9
	v_mul_f16_e32 v9, 0xb94e, v6
	v_add_f16_e32 v14, v47, v50
	v_fmamk_f16 v11, v1, 0x3b15, v46
	v_add_f16_e32 v4, v4, v8
	v_fma_f16 v8, v1, 0x3b15, -v46
	v_mul_f16_e32 v46, 0x3a95, v6
	v_fmamk_f16 v47, v1, 0xb9fd, v9
	v_add_f16_e32 v11, v11, v13
	v_add_f16_e32 v53, v63, v59
	v_add_f16_e32 v8, v8, v12
	v_fmamk_f16 v12, v1, 0x388b, v46
	v_add_f16_e32 v13, v47, v42
	v_mul_f16_e32 v42, 0xbb7b, v6
	v_add_f16_e32 v49, v49, v53
	v_fma_f16 v9, v1, 0xb9fd, -v9
	v_add_f16_e32 v12, v12, v37
	v_mul_f16_e32 v6, 0x3bf1, v6
	v_fmamk_f16 v37, v1, 0xb5ac, v42
	v_add_f16_e32 v43, v43, v49
	v_add_f16_e32 v9, v9, v15
	v_fma_f16 v15, v1, 0x388b, -v46
	v_fma_f16 v42, v1, 0xb5ac, -v42
	v_add_f16_e32 v7, v37, v7
	v_subrev_nc_u32_e32 v37, 26, v20
	v_fmamk_f16 v46, v1, 0x2fb7, v6
	v_fma_f16 v1, v1, 0x2fb7, -v6
	v_add_f16_e32 v6, v15, v43
	v_add_f16_e32 v10, v42, v10
	v_cndmask_b32_e64 v49, v37, v20, s0
	v_add_f16_e32 v14, v46, v14
	v_add_f16_e32 v15, v1, v2
	v_mov_b32_e32 v2, 0
	ds_write_b16 v0, v3
	ds_write_b16 v0, v5 offset:4
	ds_write_b16 v0, v11 offset:8
	;; [unrolled: 1-line block ×3, first 2 shown]
	v_mul_i32_i24_e32 v1, 12, v49
	ds_write_b16 v0, v12 offset:16
	ds_write_b16 v0, v7 offset:20
	;; [unrolled: 1-line block ×9, first 2 shown]
	s_waitcnt lgkmcnt(0)
	v_lshlrev_b64 v[1:2], 2, v[1:2]
	s_barrier
	buffer_gl0_inv
	v_and_b32_e32 v0, 0xff, v21
	v_lshlrev_b32_e32 v49, 1, v49
	v_add_co_u32 v1, s1, s8, v1
	v_add_co_ci_u32_e64 v2, s1, s9, v2, s1
	s_clause 0x1
	global_load_dwordx4 v[91:94], v[1:2], off offset:96
	global_load_dwordx4 v[95:98], v[1:2], off offset:112
	v_mul_lo_u16 v0, 0x4f, v0
	global_load_dwordx4 v[4:7], v[1:2], off offset:128
	v_cmp_lt_u32_e64 s1, 25, v20
	v_lshrrev_b16 v51, 11, v0
	v_mul_lo_u16 v0, v51, 26
	v_sub_nc_u16 v52, v21, v0
	v_mov_b32_e32 v0, 12
	v_mul_u32_u24_sdwa v0, v52, v0 dst_sel:DWORD dst_unused:UNUSED_PAD src0_sel:BYTE_0 src1_sel:DWORD
	v_lshlrev_b32_e32 v12, 2, v0
	s_clause 0x2
	global_load_dwordx4 v[0:3], v12, s[8:9] offset:96
	global_load_dwordx4 v[8:11], v12, s[8:9] offset:112
	;; [unrolled: 1-line block ×3, first 2 shown]
	ds_read_u16 v42, v40
	ds_read_u16 v41, v41
	ds_read_u16 v43, v35
	ds_read_u16 v46, v36
	ds_read_u16 v40, v30
	ds_read_u16 v39, v39
	ds_read_u16 v57, v38
	s_waitcnt vmcnt(5) lgkmcnt(4)
	v_mul_f16_sdwa v47, v43, v91 dst_sel:DWORD dst_unused:UNUSED_PAD src0_sel:DWORD src1_sel:WORD_1
	v_mul_f16_sdwa v48, v42, v93 dst_sel:DWORD dst_unused:UNUSED_PAD src0_sel:DWORD src1_sel:WORD_1
	;; [unrolled: 1-line block ×5, first 2 shown]
	v_fma_f16 v76, v90, v91, -v47
	s_waitcnt lgkmcnt(3)
	v_mul_f16_sdwa v47, v46, v92 dst_sel:DWORD dst_unused:UNUSED_PAD src0_sel:DWORD src1_sel:WORD_1
	v_fma_f16 v63, v82, v93, -v48
	v_mul_f16_sdwa v50, v88, v94 dst_sel:DWORD dst_unused:UNUSED_PAD src0_sel:DWORD src1_sel:WORD_1
	v_fmac_f16_e32 v77, v43, v91
	v_fmac_f16_e32 v61, v42, v93
	v_fma_f16 v71, v86, v92, -v47
	ds_read_u16 v47, v29 offset:1456
	ds_read_u16 v59, v29 offset:1664
	;; [unrolled: 1-line block ×8, first 2 shown]
	v_mul_f16_sdwa v38, v41, v94 dst_sel:DWORD dst_unused:UNUSED_PAD src0_sel:DWORD src1_sel:WORD_1
	s_waitcnt vmcnt(4) lgkmcnt(9)
	v_mul_f16_sdwa v42, v39, v95 dst_sel:DWORD dst_unused:UNUSED_PAD src0_sel:DWORD src1_sel:WORD_1
	v_mul_f16_sdwa v43, v84, v95 dst_sel:DWORD dst_unused:UNUSED_PAD src0_sel:DWORD src1_sel:WORD_1
	s_waitcnt lgkmcnt(8)
	v_mul_f16_sdwa v48, v57, v96 dst_sel:DWORD dst_unused:UNUSED_PAD src0_sel:DWORD src1_sel:WORD_1
	v_fmac_f16_e32 v50, v41, v94
	v_mul_f16_sdwa v41, v87, v97 dst_sel:DWORD dst_unused:UNUSED_PAD src0_sel:DWORD src1_sel:WORD_1
	v_fmac_f16_e32 v70, v46, v92
	v_fma_f16 v53, v88, v94, -v38
	v_fma_f16 v46, v84, v95, -v42
	v_mul_f16_sdwa v38, v81, v96 dst_sel:DWORD dst_unused:UNUSED_PAD src0_sel:DWORD src1_sel:WORD_1
	v_fmac_f16_e32 v43, v39, v95
	v_fma_f16 v39, v81, v96, -v48
	ds_read_u16 v81, v29 offset:1352
	ds_read_u16 v84, v29 offset:1560
	;; [unrolled: 1-line block ×3, first 2 shown]
	s_waitcnt lgkmcnt(9)
	v_mul_f16_sdwa v48, v59, v98 dst_sel:DWORD dst_unused:UNUSED_PAD src0_sel:DWORD src1_sel:WORD_1
	v_fmac_f16_e32 v38, v57, v96
	s_waitcnt vmcnt(3)
	v_mul_f16_sdwa v57, v85, v4 dst_sel:DWORD dst_unused:UNUSED_PAD src0_sel:DWORD src1_sel:WORD_1
	v_mul_f16_sdwa v42, v47, v97 dst_sel:DWORD dst_unused:UNUSED_PAD src0_sel:DWORD src1_sel:WORD_1
	v_fmac_f16_e32 v41, v47, v97
	v_mul_f16_sdwa v47, v89, v98 dst_sel:DWORD dst_unused:UNUSED_PAD src0_sel:DWORD src1_sel:WORD_1
	s_waitcnt lgkmcnt(3)
	v_mul_f16_sdwa v67, v69, v4 dst_sel:DWORD dst_unused:UNUSED_PAD src0_sel:DWORD src1_sel:WORD_1
	v_fma_f16 v48, v89, v98, -v48
	v_fma_f16 v42, v87, v97, -v42
	ds_read_u16 v87, v29 offset:312
	ds_read_u16 v90, v29 offset:520
	;; [unrolled: 1-line block ×3, first 2 shown]
	v_fmac_f16_e32 v47, v59, v98
	v_mul_f16_sdwa v89, v68, v5 dst_sel:DWORD dst_unused:UNUSED_PAD src0_sel:DWORD src1_sel:WORD_1
	v_fma_f16 v59, v85, v4, -v67
	v_mul_f16_sdwa v67, v83, v5 dst_sel:DWORD dst_unused:UNUSED_PAD src0_sel:DWORD src1_sel:WORD_1
	v_fmac_f16_e32 v57, v69, v4
	v_mul_f16_sdwa v69, v79, v7 dst_sel:DWORD dst_unused:UNUSED_PAD src0_sel:DWORD src1_sel:WORD_1
	v_fma_f16 v4, v83, v5, -v89
	v_mul_f16_sdwa v83, v82, v6 dst_sel:DWORD dst_unused:UNUSED_PAD src0_sel:DWORD src1_sel:WORD_1
	v_fmac_f16_e32 v67, v68, v5
	ds_read_u16 v5, v29 offset:2600
	ds_read_u16 v93, v29 offset:2392
	;; [unrolled: 1-line block ×4, first 2 shown]
	ds_read_u16 v99, v29
	v_mul_f16_sdwa v68, v78, v6 dst_sel:DWORD dst_unused:UNUSED_PAD src0_sel:DWORD src1_sel:WORD_1
	s_waitcnt lgkmcnt(8)
	v_mul_f16_sdwa v85, v88, v7 dst_sel:DWORD dst_unused:UNUSED_PAD src0_sel:DWORD src1_sel:WORD_1
	v_fmac_f16_e32 v69, v88, v7
	s_waitcnt vmcnt(2)
	v_mul_f16_sdwa v88, v75, v0 dst_sel:DWORD dst_unused:UNUSED_PAD src0_sel:DWORD src1_sel:WORD_1
	v_fma_f16 v100, v78, v6, -v83
	s_waitcnt lgkmcnt(7)
	v_mul_f16_sdwa v89, v87, v0 dst_sel:DWORD dst_unused:UNUSED_PAD src0_sel:DWORD src1_sel:WORD_1
	v_fmac_f16_e32 v68, v82, v6
	v_fma_f16 v101, v79, v7, -v85
	s_waitcnt lgkmcnt(6)
	v_mul_f16_sdwa v6, v90, v1 dst_sel:DWORD dst_unused:UNUSED_PAD src0_sel:DWORD src1_sel:WORD_1
	v_mul_f16_sdwa v85, v74, v1 dst_sel:DWORD dst_unused:UNUSED_PAD src0_sel:DWORD src1_sel:WORD_1
	v_fma_f16 v89, v75, v0, -v89
	v_fmac_f16_e32 v88, v87, v0
	v_mul_f16_sdwa v78, v66, v3 dst_sel:DWORD dst_unused:UNUSED_PAD src0_sel:DWORD src1_sel:WORD_1
	s_waitcnt lgkmcnt(5)
	v_mul_f16_sdwa v7, v91, v2 dst_sel:DWORD dst_unused:UNUSED_PAD src0_sel:DWORD src1_sel:WORD_1
	v_fma_f16 v87, v74, v1, -v6
	v_fmac_f16_e32 v85, v90, v1
	s_waitcnt vmcnt(1)
	v_mul_f16_sdwa v6, v80, v11 dst_sel:DWORD dst_unused:UNUSED_PAD src0_sel:DWORD src1_sel:WORD_1
	v_mul_f16_sdwa v75, v62, v11 dst_sel:DWORD dst_unused:UNUSED_PAD src0_sel:DWORD src1_sel:WORD_1
	s_waitcnt lgkmcnt(2)
	v_mul_f16_sdwa v0, v92, v3 dst_sel:DWORD dst_unused:UNUSED_PAD src0_sel:DWORD src1_sel:WORD_1
	s_waitcnt lgkmcnt(1)
	v_mul_f16_sdwa v1, v94, v8 dst_sel:DWORD dst_unused:UNUSED_PAD src0_sel:DWORD src1_sel:WORD_1
	v_fmac_f16_e32 v78, v92, v3
	v_mul_f16_sdwa v82, v73, v2 dst_sel:DWORD dst_unused:UNUSED_PAD src0_sel:DWORD src1_sel:WORD_1
	v_fma_f16 v83, v73, v2, -v7
	v_fma_f16 v79, v66, v3, -v0
	v_mul_f16_sdwa v3, v84, v10 dst_sel:DWORD dst_unused:UNUSED_PAD src0_sel:DWORD src1_sel:WORD_1
	v_mul_f16_sdwa v73, v65, v8 dst_sel:DWORD dst_unused:UNUSED_PAD src0_sel:DWORD src1_sel:WORD_1
	v_fma_f16 v74, v65, v8, -v1
	v_mul_f16_sdwa v0, v64, v9 dst_sel:DWORD dst_unused:UNUSED_PAD src0_sel:DWORD src1_sel:WORD_1
	v_mul_f16_sdwa v1, v72, v10 dst_sel:DWORD dst_unused:UNUSED_PAD src0_sel:DWORD src1_sel:WORD_1
	v_fma_f16 v3, v72, v10, -v3
	v_fma_f16 v72, v62, v11, -v6
	v_fmac_f16_e32 v75, v80, v11
	s_waitcnt vmcnt(0)
	v_mul_f16_sdwa v6, v86, v12 dst_sel:DWORD dst_unused:UNUSED_PAD src0_sel:DWORD src1_sel:WORD_1
	v_mul_f16_sdwa v80, v58, v12 dst_sel:DWORD dst_unused:UNUSED_PAD src0_sel:DWORD src1_sel:WORD_1
	;; [unrolled: 1-line block ×3, first 2 shown]
	v_fmac_f16_e32 v82, v91, v2
	v_mul_f16_sdwa v2, v81, v9 dst_sel:DWORD dst_unused:UNUSED_PAD src0_sel:DWORD src1_sel:WORD_1
	v_fmac_f16_e32 v73, v94, v8
	v_fmac_f16_e32 v0, v81, v9
	;; [unrolled: 1-line block ×3, first 2 shown]
	v_mul_f16_sdwa v84, v55, v13 dst_sel:DWORD dst_unused:UNUSED_PAD src0_sel:DWORD src1_sel:WORD_1
	v_mul_f16_sdwa v8, v93, v14 dst_sel:DWORD dst_unused:UNUSED_PAD src0_sel:DWORD src1_sel:WORD_1
	v_fma_f16 v81, v58, v12, -v6
	v_fmac_f16_e32 v80, v86, v12
	v_fma_f16 v86, v55, v13, -v7
	v_sub_f16_e32 v6, v77, v69
	v_mul_f16_sdwa v90, v60, v14 dst_sel:DWORD dst_unused:UNUSED_PAD src0_sel:DWORD src1_sel:WORD_1
	v_mul_f16_sdwa v7, v5, v15 dst_sel:DWORD dst_unused:UNUSED_PAD src0_sel:DWORD src1_sel:WORD_1
	v_fma_f16 v2, v64, v9, -v2
	v_fmac_f16_e32 v84, v54, v13
	v_fma_f16 v91, v60, v14, -v8
	v_mul_f16_sdwa v92, v56, v15 dst_sel:DWORD dst_unused:UNUSED_PAD src0_sel:DWORD src1_sel:WORD_1
	v_add_f16_e32 v8, v76, v101
	v_mul_f16_e32 v9, 0xb770, v6
	v_fmac_f16_e32 v90, v93, v14
	v_fma_f16 v93, v56, v15, -v7
	v_mul_f16_e32 v7, 0xba95, v6
	v_mul_f16_e32 v10, 0xbbf1, v6
	;; [unrolled: 1-line block ×5, first 2 shown]
	v_sub_f16_e32 v54, v70, v68
	v_fmac_f16_e32 v92, v5, v15
	v_fma_f16 v5, v8, 0x3b15, -v9
	v_fmac_f16_e32 v9, 0x3b15, v8
	v_fma_f16 v11, v8, 0x388b, -v7
	;; [unrolled: 2-line block ×5, first 2 shown]
	v_fmac_f16_e32 v14, 0xb9fd, v8
	v_add_f16_e32 v56, v71, v100
	v_mul_f16_e32 v58, 0xba95, v54
	v_fma_f16 v60, v8, 0xbbc4, -v6
	v_fmac_f16_e32 v6, 0xbbc4, v8
	v_mul_f16_e32 v8, 0xbb7b, v54
	v_add_f16_e32 v5, v45, v5
	v_fma_f16 v62, v56, 0x388b, -v58
	v_add_f16_e32 v9, v45, v9
	v_fmac_f16_e32 v58, 0x388b, v56
	v_add_f16_e32 v11, v45, v11
	v_fma_f16 v64, v56, 0xb5ac, -v8
	v_add_f16_e32 v7, v45, v7
	v_fmac_f16_e32 v8, 0xb5ac, v56
	v_add_f16_e32 v5, v62, v5
	v_mul_f16_e32 v62, 0xb3a8, v54
	v_add_f16_e32 v9, v58, v9
	v_add_f16_e32 v11, v64, v11
	v_mul_f16_e32 v58, 0x394e, v54
	v_mul_f16_e32 v64, 0x3bf1, v54
	v_add_f16_e32 v7, v8, v7
	v_add_f16_e32 v8, v45, v13
	v_fma_f16 v13, v56, 0xbbc4, -v62
	v_add_f16_e32 v15, v45, v15
	v_fma_f16 v65, v56, 0xb9fd, -v58
	v_add_f16_e32 v55, v45, v55
	v_fma_f16 v66, v56, 0x2fb7, -v64
	v_add_f16_e32 v10, v45, v10
	v_fmac_f16_e32 v62, 0xbbc4, v56
	v_add_f16_e32 v12, v45, v12
	v_fmac_f16_e32 v58, 0xb9fd, v56
	v_add_f16_e32 v8, v13, v8
	v_add_f16_e32 v13, v65, v15
	;; [unrolled: 1-line block ×3, first 2 shown]
	v_sub_f16_e32 v55, v61, v67
	v_add_f16_e32 v10, v62, v10
	v_add_f16_e32 v12, v58, v12
	;; [unrolled: 1-line block ×3, first 2 shown]
	v_mul_f16_e32 v54, 0x3770, v54
	v_fmac_f16_e32 v64, 0x2fb7, v56
	v_add_f16_e32 v58, v45, v60
	v_add_f16_e32 v60, v63, v4
	v_mul_f16_e32 v62, 0xbbf1, v55
	v_fma_f16 v65, v56, 0x3b15, -v54
	v_add_f16_e32 v14, v64, v14
	v_fmac_f16_e32 v54, 0x3b15, v56
	v_add_f16_e32 v6, v45, v6
	v_fma_f16 v56, v60, 0x2fb7, -v62
	v_fmac_f16_e32 v62, 0x2fb7, v60
	v_mul_f16_e32 v64, 0xb3a8, v55
	v_add_f16_e32 v58, v65, v58
	v_add_f16_e32 v6, v54, v6
	;; [unrolled: 1-line block ×3, first 2 shown]
	v_mul_f16_e32 v54, 0x3b7b, v55
	v_add_f16_e32 v9, v62, v9
	v_fma_f16 v56, v60, 0xbbc4, -v64
	v_mul_f16_e32 v62, 0x3770, v55
	v_fmac_f16_e32 v64, 0xbbc4, v60
	v_fma_f16 v65, v60, 0xb5ac, -v54
	v_fmac_f16_e32 v54, 0xb5ac, v60
	v_add_f16_e32 v11, v56, v11
	v_fma_f16 v56, v60, 0x3b15, -v62
	v_add_f16_e32 v7, v64, v7
	v_add_f16_e32 v66, v53, v59
	;; [unrolled: 1-line block ×3, first 2 shown]
	v_mul_f16_e32 v54, 0xba95, v55
	v_add_f16_e32 v13, v56, v13
	v_sub_f16_e32 v56, v50, v57
	v_mul_f16_e32 v55, 0xb94e, v55
	v_add_f16_e32 v8, v65, v8
	v_fma_f16 v64, v60, 0x388b, -v54
	v_fmac_f16_e32 v54, 0x388b, v60
	v_mul_f16_e32 v94, 0xbb7b, v56
	v_fmac_f16_e32 v62, 0x3b15, v60
	v_fma_f16 v65, v60, 0xb9fd, -v55
	v_fmac_f16_e32 v55, 0xb9fd, v60
	v_add_f16_e32 v14, v54, v14
	v_fma_f16 v54, v66, 0xb5ac, -v94
	v_mul_f16_e32 v60, 0x394e, v56
	v_add_f16_e32 v12, v62, v12
	v_add_f16_e32 v6, v55, v6
	v_mul_f16_e32 v62, 0xbbf1, v56
	v_add_f16_e32 v5, v54, v5
	v_mul_f16_e32 v54, 0x3770, v56
	v_fma_f16 v55, v66, 0xb9fd, -v60
	v_add_f16_e32 v15, v64, v15
	v_fmac_f16_e32 v94, 0xb5ac, v66
	v_fmac_f16_e32 v60, 0xb9fd, v66
	v_fma_f16 v64, v66, 0x3b15, -v54
	v_fmac_f16_e32 v54, 0x3b15, v66
	v_add_f16_e32 v11, v55, v11
	v_fma_f16 v55, v66, 0x2fb7, -v62
	v_add_f16_e32 v58, v65, v58
	v_add_f16_e32 v9, v94, v9
	;; [unrolled: 1-line block ×3, first 2 shown]
	v_mul_f16_e32 v54, 0x33a8, v56
	v_add_f16_e32 v13, v55, v13
	v_mul_f16_e32 v55, 0x3a95, v56
	v_sub_f16_e32 v56, v43, v47
	v_add_f16_e32 v7, v60, v7
	v_fma_f16 v60, v66, 0xbbc4, -v54
	v_fmac_f16_e32 v54, 0xbbc4, v66
	v_add_f16_e32 v65, v46, v48
	v_mul_f16_e32 v94, 0xb94e, v56
	v_add_f16_e32 v8, v64, v8
	v_fmac_f16_e32 v62, 0x2fb7, v66
	v_fma_f16 v64, v66, 0x388b, -v55
	v_fmac_f16_e32 v55, 0x388b, v66
	v_add_f16_e32 v15, v60, v15
	v_add_f16_e32 v14, v54, v14
	v_fma_f16 v54, v65, 0xb9fd, -v94
	v_mul_f16_e32 v60, 0x3bf1, v56
	v_add_f16_e32 v12, v62, v12
	v_add_f16_e32 v6, v55, v6
	v_mul_f16_e32 v62, 0x33a8, v56
	v_add_f16_e32 v5, v54, v5
	v_mul_f16_e32 v54, 0xba95, v56
	v_fma_f16 v55, v65, 0x2fb7, -v60
	v_add_f16_e32 v58, v64, v58
	v_fmac_f16_e32 v94, 0xb9fd, v65
	v_fmac_f16_e32 v60, 0x2fb7, v65
	v_fma_f16 v64, v65, 0x388b, -v54
	v_fmac_f16_e32 v54, 0x388b, v65
	v_add_f16_e32 v11, v55, v11
	v_fma_f16 v55, v65, 0xbbc4, -v62
	v_add_f16_e32 v9, v94, v9
	v_add_f16_e32 v7, v60, v7
	;; [unrolled: 1-line block ×3, first 2 shown]
	v_mul_f16_e32 v54, 0x3770, v56
	v_add_f16_e32 v13, v55, v13
	v_mul_f16_e32 v55, 0xbb7b, v56
	v_sub_f16_e32 v56, v38, v41
	v_add_f16_e32 v66, v39, v42
	v_fma_f16 v60, v65, 0x3b15, -v54
	v_fmac_f16_e32 v54, 0x3b15, v65
	v_add_f16_e32 v8, v64, v8
	v_mul_f16_e32 v94, 0xb3a8, v56
	v_fmac_f16_e32 v62, 0xbbc4, v65
	v_fma_f16 v64, v65, 0xb5ac, -v55
	v_fmac_f16_e32 v55, 0xb5ac, v65
	v_add_f16_e32 v15, v60, v15
	v_add_f16_e32 v14, v54, v14
	v_fma_f16 v54, v66, 0xbbc4, -v94
	v_mul_f16_e32 v60, 0x3770, v56
	v_add_f16_e32 v12, v62, v12
	v_add_f16_e32 v6, v55, v6
	v_mul_f16_e32 v62, 0x3a95, v56
	v_add_f16_e32 v54, v54, v5
	v_mul_f16_e32 v5, 0xb94e, v56
	v_fma_f16 v55, v66, 0x3b15, -v60
	v_add_f16_e32 v58, v64, v58
	v_fmac_f16_e32 v94, 0xbbc4, v66
	v_fmac_f16_e32 v60, 0x3b15, v66
	v_fma_f16 v64, v66, 0xb9fd, -v5
	v_fmac_f16_e32 v5, 0xb9fd, v66
	v_add_f16_e32 v11, v55, v11
	v_fma_f16 v55, v66, 0x388b, -v62
	v_add_f16_e32 v9, v94, v9
	v_add_f16_e32 v7, v60, v7
	;; [unrolled: 1-line block ×3, first 2 shown]
	v_mul_f16_e32 v5, 0xbb7b, v56
	v_add_f16_e32 v13, v55, v13
	v_mul_f16_e32 v55, 0x3bf1, v56
	v_sub_f16_e32 v56, v88, v92
	v_add_f16_e32 v8, v64, v8
	v_fmac_f16_e32 v62, 0x388b, v66
	v_fma_f16 v60, v66, 0xb5ac, -v5
	v_fmac_f16_e32 v5, 0xb5ac, v66
	v_fma_f16 v64, v66, 0x2fb7, -v55
	v_add_f16_e32 v65, v89, v93
	v_mul_f16_e32 v94, 0xbbf1, v56
	v_fmac_f16_e32 v55, 0x2fb7, v66
	v_sub_f16_e32 v66, v85, v90
	v_add_f16_e32 v12, v62, v12
	v_add_f16_e32 v15, v60, v15
	v_fma_f16 v60, v65, 0x2fb7, -v94
	v_add_f16_e32 v62, v87, v91
	v_mul_f16_e32 v95, 0xb3a8, v66
	v_add_f16_e32 v14, v5, v14
	v_fmac_f16_e32 v94, 0x2fb7, v65
	v_add_f16_e32 v5, v44, v60
	v_add_f16_e32 v58, v64, v58
	v_fma_f16 v60, v62, 0xbbc4, -v95
	v_mul_f16_e32 v64, 0xbb7b, v56
	v_add_f16_e32 v94, v44, v94
	v_fmac_f16_e32 v95, 0xbbc4, v62
	v_add_f16_e32 v6, v55, v6
	v_add_f16_e32 v5, v60, v5
	v_mul_f16_e32 v60, 0xb94e, v56
	v_fma_f16 v55, v65, 0xb5ac, -v64
	v_add_f16_e32 v94, v95, v94
	v_mul_f16_e32 v95, 0x394e, v66
	v_fmac_f16_e32 v64, 0xb5ac, v65
	v_fma_f16 v96, v65, 0xb9fd, -v60
	v_mul_f16_e32 v97, 0x3bf1, v66
	v_add_f16_e32 v55, v44, v55
	v_fma_f16 v98, v62, 0xb9fd, -v95
	v_add_f16_e32 v64, v44, v64
	v_fmac_f16_e32 v95, 0xb9fd, v62
	v_add_f16_e32 v96, v44, v96
	v_fma_f16 v102, v62, 0x2fb7, -v97
	v_fmac_f16_e32 v60, 0xb9fd, v65
	v_mul_f16_e32 v103, 0xb3a8, v56
	v_add_f16_e32 v55, v98, v55
	v_add_f16_e32 v64, v95, v64
	v_add_f16_e32 v95, v102, v96
	v_add_f16_e32 v60, v44, v60
	v_fma_f16 v96, v65, 0xbbc4, -v103
	v_mul_f16_e32 v98, 0x3770, v66
	v_fmac_f16_e32 v103, 0xbbc4, v65
	v_fmac_f16_e32 v97, 0x2fb7, v62
	v_sub_f16_e32 v102, v82, v84
	v_add_f16_e32 v96, v44, v96
	v_fma_f16 v104, v62, 0x3b15, -v98
	v_add_f16_e32 v103, v44, v103
	v_add_f16_e32 v105, v83, v86
	v_mul_f16_e32 v106, 0x3b7b, v102
	v_fmac_f16_e32 v98, 0x3b15, v62
	v_add_f16_e32 v60, v97, v60
	v_mul_f16_e32 v97, 0x3770, v102
	v_add_f16_e32 v96, v104, v96
	v_fma_f16 v104, v105, 0xb5ac, -v106
	v_add_f16_e32 v98, v98, v103
	v_fmac_f16_e32 v106, 0xb5ac, v105
	v_mul_f16_e32 v103, 0xba95, v102
	v_fma_f16 v107, v105, 0x3b15, -v97
	v_fmac_f16_e32 v97, 0x3b15, v105
	v_add_f16_e32 v5, v104, v5
	v_add_f16_e32 v94, v106, v94
	v_fma_f16 v104, v105, 0x388b, -v103
	v_mul_f16_e32 v106, 0xb94e, v102
	v_add_f16_e32 v64, v97, v64
	v_sub_f16_e32 v97, v78, v80
	v_fmac_f16_e32 v103, 0x388b, v105
	v_add_f16_e32 v55, v107, v55
	v_add_f16_e32 v95, v104, v95
	v_fma_f16 v104, v105, 0xb9fd, -v106
	v_add_f16_e32 v107, v79, v81
	v_mul_f16_e32 v108, 0x3770, v97
	v_fmac_f16_e32 v106, 0xb9fd, v105
	v_add_f16_e32 v60, v103, v60
	v_mul_f16_e32 v103, 0xbbf1, v97
	v_add_f16_e32 v96, v104, v96
	v_fma_f16 v104, v107, 0x3b15, -v108
	v_add_f16_e32 v98, v106, v98
	v_fmac_f16_e32 v108, 0x3b15, v107
	v_mul_f16_e32 v106, 0x33a8, v97
	v_fma_f16 v109, v107, 0x2fb7, -v103
	v_fmac_f16_e32 v103, 0x2fb7, v107
	v_add_f16_e32 v5, v104, v5
	v_add_f16_e32 v94, v108, v94
	v_fma_f16 v104, v107, 0xbbc4, -v106
	v_mul_f16_e32 v108, 0x3a95, v97
	v_add_f16_e32 v64, v103, v64
	v_sub_f16_e32 v103, v73, v75
	v_add_f16_e32 v55, v109, v55
	v_add_f16_e32 v95, v104, v95
	v_fmac_f16_e32 v106, 0xbbc4, v107
	v_fma_f16 v104, v107, 0x388b, -v108
	v_add_f16_e32 v109, v74, v72
	v_mul_f16_e32 v110, 0xba95, v103
	v_fmac_f16_e32 v108, 0x388b, v107
	v_add_f16_e32 v60, v106, v60
	v_add_f16_e32 v96, v104, v96
	v_mul_f16_e32 v104, 0x33a8, v103
	v_fma_f16 v106, v109, 0x388b, -v110
	v_pk_mul_f16 v56, 0xb770ba95, v56 op_sel_hi:[1,0]
	v_add_f16_e32 v98, v108, v98
	v_pk_mul_f16 v66, 0xba95bb7b, v66 op_sel_hi:[1,0]
	v_fma_f16 v108, v109, 0xbbc4, -v104
	v_add_f16_e32 v106, v106, v5
	v_fmac_f16_e32 v104, 0xbbc4, v109
	v_pk_fma_f16 v5, 0x3b15388b, v65, v56 op_sel_hi:[1,0,1] neg_lo:[0,0,1] neg_hi:[0,0,1]
	v_add_f16_e32 v45, v45, v76
	v_pk_fma_f16 v56, 0x3b15388b, v65, v56 op_sel_hi:[1,0,1]
	v_pk_mul_f16 v102, 0xbbf1b3a8, v102 op_sel_hi:[1,0]
	v_add_f16_e32 v64, v104, v64
	v_add_f16_sdwa v65, v44, v5 dst_sel:DWORD dst_unused:UNUSED_PAD src0_sel:DWORD src1_sel:WORD_1
	v_add_f16_e32 v5, v44, v5
	v_pk_fma_f16 v104, 0x388bb5ac, v62, v66 op_sel_hi:[1,0,1] neg_lo:[0,0,1] neg_hi:[0,0,1]
	v_add_f16_e32 v45, v45, v71
	v_add_f16_e32 v55, v108, v55
	v_pk_fma_f16 v62, 0x388bb5ac, v62, v66 op_sel_hi:[1,0,1]
	v_mul_f16_e32 v66, 0x3770, v103
	v_pk_add_f16 v56, v44, v56 op_sel_hi:[0,1]
	v_add_f16_sdwa v65, v104, v65 dst_sel:DWORD dst_unused:UNUSED_PAD src0_sel:WORD_1 src1_sel:DWORD
	v_add_f16_e32 v5, v104, v5
	v_pk_fma_f16 v108, 0x2fb7bbc4, v105, v102 op_sel_hi:[1,0,1] neg_lo:[0,0,1] neg_hi:[0,0,1]
	v_pk_mul_f16 v97, 0xbb7b394e, v97 op_sel_hi:[1,0]
	v_add_f16_e32 v45, v45, v63
	v_fma_f16 v104, v109, 0x3b15, -v66
	v_pk_add_f16 v56, v62, v56
	v_pk_fma_f16 v62, 0x2fb7bbc4, v105, v102 op_sel_hi:[1,0,1]
	v_add_f16_sdwa v65, v108, v65 dst_sel:DWORD dst_unused:UNUSED_PAD src0_sel:WORD_1 src1_sel:DWORD
	v_fmac_f16_e32 v66, 0x3b15, v109
	v_add_f16_e32 v5, v108, v5
	v_pk_fma_f16 v102, 0xb5acb9fd, v107, v97 op_sel_hi:[1,0,1] neg_lo:[0,0,1] neg_hi:[0,0,1]
	v_add_f16_e32 v45, v45, v53
	v_add_f16_e32 v44, v44, v89
	v_pk_add_f16 v56, v62, v56
	v_pk_fma_f16 v62, 0xb5acb9fd, v107, v97 op_sel_hi:[1,0,1]
	v_add_f16_e32 v60, v66, v60
	v_mul_f16_e32 v66, 0xbb7b, v103
	v_add_f16_sdwa v65, v102, v65 dst_sel:DWORD dst_unused:UNUSED_PAD src0_sel:WORD_1 src1_sel:DWORD
	v_add_f16_e32 v5, v102, v5
	v_pk_mul_f16 v97, 0xb94e3bf1, v103 op_sel_hi:[1,0]
	v_sub_f16_e32 v102, v0, v1
	v_add_f16_e32 v45, v45, v46
	v_add_f16_e32 v44, v44, v87
	v_add_f16_e32 v95, v104, v95
	v_pk_add_f16 v56, v62, v56
	v_fma_f16 v62, v109, 0xb5ac, -v66
	v_fmac_f16_e32 v66, 0xb5ac, v109
	v_pk_fma_f16 v103, 0xb9fd2fb7, v109, v97 op_sel_hi:[1,0,1] neg_lo:[0,0,1] neg_hi:[0,0,1]
	v_pk_fma_f16 v97, 0xb9fd2fb7, v109, v97 op_sel_hi:[1,0,1]
	v_add_f16_e32 v104, v2, v3
	v_pk_mul_f16 v105, 0xb3a83770, v102 op_sel_hi:[1,0]
	v_add_f16_e32 v45, v45, v39
	v_add_f16_e32 v44, v44, v83
	v_fmac_f16_e32 v110, 0x388b, v109
	v_add_f16_e32 v62, v62, v96
	v_add_f16_e32 v66, v66, v98
	v_add_f16_sdwa v65, v103, v65 dst_sel:DWORD dst_unused:UNUSED_PAD src0_sel:WORD_1 src1_sel:DWORD
	v_pk_fma_f16 v96, 0xbbc43b15, v104, v105 op_sel_hi:[1,0,1] neg_lo:[0,0,1] neg_hi:[0,0,1]
	v_add_f16_e32 v5, v103, v5
	v_pk_add_f16 v56, v97, v56
	v_pk_fma_f16 v97, 0xbbc43b15, v104, v105 op_sel_hi:[1,0,1]
	v_mul_f16_e32 v98, 0xb94e, v102
	v_add_f16_e32 v45, v45, v42
	v_add_f16_e32 v44, v44, v79
	;; [unrolled: 1-line block ×3, first 2 shown]
	v_add_f16_sdwa v65, v96, v65 dst_sel:DWORD dst_unused:UNUSED_PAD src0_sel:WORD_1 src1_sel:DWORD
	v_add_f16_e32 v96, v96, v5
	v_pk_add_f16 v5, v97, v56
	v_mul_f16_e32 v56, 0x3a95, v102
	v_fma_f16 v97, v104, 0xb9fd, -v98
	v_fmac_f16_e32 v98, 0xb9fd, v104
	v_add_f16_e32 v45, v45, v48
	v_add_f16_e32 v44, v44, v74
	v_fma_f16 v103, v104, 0x388b, -v56
	s_waitcnt lgkmcnt(0)
	v_add_f16_e32 v98, v98, v94
	v_mul_f16_e32 v94, 0xbb7b, v102
	v_add_f16_e32 v45, v45, v59
	v_add_f16_e32 v44, v44, v2
	;; [unrolled: 1-line block ×3, first 2 shown]
	v_mul_f16_e32 v102, 0x3bf1, v102
	v_fma_f16 v103, v104, 0xb5ac, -v94
	v_fmac_f16_e32 v94, 0xb5ac, v104
	v_add_f16_e32 v45, v45, v4
	v_add_f16_e32 v44, v44, v3
	s_barrier
	buffer_gl0_inv
	v_add_f16_e32 v60, v94, v60
	v_cndmask_b32_e64 v94, 0, 0x2a4, s1
	v_add_f16_e32 v45, v45, v100
	v_add_f16_e32 v44, v44, v72
	v_fmac_f16_e32 v56, 0x388b, v104
	v_fma_f16 v105, v104, 0x2fb7, -v102
	v_add3_u32 v94, 0, v94, v49
	v_add_f16_e32 v45, v45, v101
	v_add_f16_e32 v44, v44, v81
	ds_write_b16 v94, v45
	ds_write_b16 v94, v54 offset:52
	ds_write_b16 v94, v11 offset:104
	ds_write_b16 v94, v8 offset:156
	v_mov_b32_e32 v8, 0x2a4
	v_mov_b32_e32 v11, 1
	v_add_f16_e32 v44, v44, v86
	v_fmac_f16_e32 v102, 0x2fb7, v104
	ds_write_b16 v94, v13 offset:208
	ds_write_b16 v94, v15 offset:260
	v_mul_u32_u24_sdwa v8, v51, v8 dst_sel:DWORD dst_unused:UNUSED_PAD src0_sel:WORD_0 src1_sel:DWORD
	v_lshlrev_b32_sdwa v11, v11, v52 dst_sel:DWORD dst_unused:UNUSED_PAD src0_sel:DWORD src1_sel:BYTE_0
	v_add_f16_e32 v13, v44, v91
	v_add_f16_e32 v97, v97, v106
	;; [unrolled: 1-line block ×6, first 2 shown]
	ds_write_b16 v94, v58 offset:312
	ds_write_b16 v94, v6 offset:364
	;; [unrolled: 1-line block ×3, first 2 shown]
	v_add3_u32 v95, 0, v8, v11
	v_add_f16_e32 v6, v13, v93
	ds_write_b16 v94, v12 offset:468
	ds_write_b16 v94, v10 offset:520
	;; [unrolled: 1-line block ×4, first 2 shown]
	ds_write_b16 v95, v6
	ds_write_b16 v95, v65 offset:52
	ds_write_b16 v95, v96 offset:104
	;; [unrolled: 1-line block ×11, first 2 shown]
	ds_write_b16_d16_hi v95, v5 offset:624
	s_waitcnt lgkmcnt(0)
	s_barrier
	buffer_gl0_inv
	ds_read_u16 v49, v36
	v_lshl_add_u32 v97, v23, 1, 0
	ds_read_u16 v36, v29 offset:2236
	ds_read_u16 v8, v29
	ds_read_u16 v10, v29 offset:676
	ds_read_u16 v12, v29 offset:780
	;; [unrolled: 1-line block ×5, first 2 shown]
	v_lshl_add_u32 v96, v25, 1, 0
	ds_read_u16 v14, v29 offset:1456
	ds_read_u16 v51, v29 offset:1560
	;; [unrolled: 1-line block ×6, first 2 shown]
	ds_read_u16 v11, v35
	ds_read_u16 v60, v96
	ds_read_u16 v15, v29 offset:1352
	ds_read_u16 v64, v29 offset:1196
	ds_read_u16 v35, v29 offset:2132
	ds_read_u16 v13, v29 offset:2028
	ds_read_u16 v66, v29 offset:1872
	ds_read_u16 v44, v97
	ds_read_u16 v9, v30
	ds_read_u16 v65, v29 offset:2548
	v_sub_nc_u32_e32 v6, 0, v34
	v_sub_nc_u32_e32 v34, 0, v31
	;; [unrolled: 1-line block ×3, first 2 shown]
                                        ; implicit-def: $vgpr7
	v_add_nc_u32_e32 v33, v33, v6
                                        ; implicit-def: $vgpr6
	s_and_saveexec_b32 s1, s0
	s_cbranch_execz .LBB0_15
; %bb.14:
	ds_read_u16 v5, v33
	s_waitcnt lgkmcnt(0)
	ds_read_u16_d16_hi v5, v29 offset:1300
	ds_read_u16 v6, v29 offset:1976
	ds_read_u16 v7, v29 offset:2652
.LBB0_15:
	s_or_b32 exec_lo, exec_lo, s1
	v_add_f16_e32 v31, v99, v77
	v_sub_f16_e32 v32, v76, v101
	v_add_f16_e32 v76, v77, v69
	v_add_f16_e32 v77, v70, v68
	v_sub_f16_e32 v71, v71, v100
	v_add_f16_e32 v31, v31, v70
	v_mul_f16_e32 v70, 0xb770, v32
	v_mul_f16_e32 v100, 0xba95, v32
	v_mul_f16_e32 v101, 0xbbf1, v32
	v_mul_f16_e32 v102, 0xbb7b, v32
	v_add_f16_e32 v31, v31, v61
	v_mul_f16_e32 v103, 0xb94e, v32
	v_mul_f16_e32 v32, 0xb3a8, v32
	;; [unrolled: 1-line block ×4, first 2 shown]
	v_add_f16_e32 v31, v31, v50
	v_fmamk_f16 v107, v76, 0x3b15, v70
	v_fma_f16 v70, v76, 0x3b15, -v70
	v_fmamk_f16 v108, v76, 0x388b, v100
	v_fma_f16 v100, v76, 0x388b, -v100
	v_add_f16_e32 v31, v31, v43
	v_fmamk_f16 v112, v76, 0xbbc4, v32
	v_fma_f16 v32, v76, 0xbbc4, -v32
	v_mul_f16_e32 v106, 0xb3a8, v71
	v_fmamk_f16 v109, v76, 0x2fb7, v101
	v_add_f16_e32 v31, v31, v38
	v_fma_f16 v101, v76, 0x2fb7, -v101
	v_fmamk_f16 v110, v76, 0xb5ac, v102
	v_fma_f16 v102, v76, 0xb5ac, -v102
	v_fmamk_f16 v111, v76, 0xb9fd, v103
	v_add_f16_e32 v31, v31, v41
	v_fma_f16 v103, v76, 0xb9fd, -v103
	v_fmamk_f16 v76, v77, 0x388b, v104
	v_fma_f16 v104, v77, 0x388b, -v104
	v_fmamk_f16 v113, v77, 0xb5ac, v105
	v_add_f16_e32 v31, v31, v47
	v_fma_f16 v105, v77, 0xb5ac, -v105
	v_add_f16_e32 v70, v99, v70
	v_add_f16_e32 v100, v99, v100
	;; [unrolled: 1-line block ×6, first 2 shown]
	v_fma_f16 v104, v77, 0xbbc4, -v106
	v_sub_f16_e32 v4, v63, v4
	v_add_f16_e32 v31, v31, v67
	v_add_f16_e32 v107, v99, v107
	;; [unrolled: 1-line block ×7, first 2 shown]
	v_mul_f16_e32 v63, 0x3770, v71
	v_add_f16_e32 v61, v61, v67
	v_mul_f16_e32 v67, 0xbbf1, v4
	v_add_f16_e32 v32, v31, v69
	;; [unrolled: 2-line block ×3, first 2 shown]
	v_fmamk_f16 v100, v77, 0xbbc4, v106
	v_mul_f16_e32 v105, 0x3bf1, v71
	v_add_f16_e32 v108, v99, v108
	v_fmamk_f16 v106, v77, 0xb9fd, v31
	v_fma_f16 v31, v77, 0xb9fd, -v31
	v_add_f16_e32 v76, v76, v107
	v_fmamk_f16 v104, v77, 0x2fb7, v105
	v_add_f16_e32 v109, v99, v109
	v_add_f16_e32 v110, v99, v110
	;; [unrolled: 1-line block ×3, first 2 shown]
	v_fma_f16 v102, v77, 0x2fb7, -v105
	v_add_f16_e32 v71, v104, v111
	v_fmamk_f16 v104, v77, 0x3b15, v63
	v_fma_f16 v63, v77, 0x3b15, -v63
	v_add_f16_e32 v112, v99, v112
	v_add_f16_e32 v77, v102, v103
	v_mul_f16_e32 v102, 0xb3a8, v4
	v_fmamk_f16 v103, v61, 0x2fb7, v67
	v_fma_f16 v67, v61, 0x2fb7, -v67
	v_add_f16_e32 v99, v113, v108
	v_add_f16_e32 v63, v63, v68
	v_fmamk_f16 v68, v61, 0xbbc4, v102
	v_add_f16_e32 v76, v103, v76
	v_fma_f16 v102, v61, 0xbbc4, -v102
	v_mul_f16_e32 v103, 0x3b7b, v4
	v_add_f16_e32 v67, v67, v70
	v_mul_f16_e32 v70, 0x3770, v4
	v_add_f16_e32 v100, v100, v109
	v_add_f16_e32 v68, v68, v99
	;; [unrolled: 1-line block ×3, first 2 shown]
	v_fmamk_f16 v99, v61, 0xb5ac, v103
	v_fma_f16 v102, v61, 0xb5ac, -v103
	v_mul_f16_e32 v103, 0xba95, v4
	v_fmamk_f16 v105, v61, 0x3b15, v70
	v_fma_f16 v70, v61, 0x3b15, -v70
	v_sub_f16_e32 v53, v53, v59
	v_add_f16_e32 v99, v99, v100
	v_add_f16_e32 v100, v102, v101
	v_fmamk_f16 v101, v61, 0x388b, v103
	v_add_f16_e32 v31, v70, v31
	v_mul_f16_e32 v4, 0xb94e, v4
	v_fma_f16 v70, v61, 0x388b, -v103
	v_add_f16_e32 v50, v50, v57
	v_mul_f16_e32 v57, 0xbb7b, v53
	v_add_f16_e32 v59, v101, v71
	v_fmamk_f16 v71, v61, 0xb9fd, v4
	v_fma_f16 v4, v61, 0xb9fd, -v4
	v_add_f16_e32 v61, v70, v77
	v_mul_f16_e32 v70, 0x394e, v53
	v_fmamk_f16 v77, v50, 0xb5ac, v57
	v_fma_f16 v57, v50, 0xb5ac, -v57
	v_add_f16_e32 v4, v4, v63
	v_sub_f16_e32 v46, v46, v48
	v_fmamk_f16 v63, v50, 0xb9fd, v70
	v_add_f16_e32 v76, v77, v76
	v_fma_f16 v70, v50, 0xb9fd, -v70
	v_mul_f16_e32 v77, 0x3770, v53
	v_add_f16_e32 v57, v57, v67
	v_add_f16_e32 v63, v63, v68
	v_mul_f16_e32 v67, 0xbbf1, v53
	v_add_f16_e32 v68, v70, v69
	v_fmamk_f16 v69, v50, 0x3b15, v77
	v_fma_f16 v70, v50, 0x3b15, -v77
	v_mul_f16_e32 v77, 0x33a8, v53
	v_fmamk_f16 v101, v50, 0x2fb7, v67
	v_fma_f16 v67, v50, 0x2fb7, -v67
	v_add_f16_e32 v69, v69, v99
	v_mul_f16_e32 v48, 0x3a95, v53
	v_fmamk_f16 v99, v50, 0xbbc4, v77
	v_add_f16_e32 v43, v43, v47
	v_mul_f16_e32 v47, 0xb94e, v46
	v_add_f16_e32 v104, v104, v112
	v_add_f16_e32 v31, v67, v31
	;; [unrolled: 1-line block ×3, first 2 shown]
	v_fma_f16 v59, v50, 0xbbc4, -v77
	v_fmamk_f16 v67, v50, 0x388b, v48
	v_fma_f16 v48, v50, 0x388b, -v48
	v_add_f16_e32 v71, v71, v104
	v_sub_f16_e32 v39, v39, v42
	v_add_f16_e32 v50, v59, v61
	v_fmamk_f16 v61, v43, 0xb9fd, v47
	v_fma_f16 v47, v43, 0xb9fd, -v47
	v_mul_f16_e32 v59, 0x3bf1, v46
	v_add_f16_e32 v67, v67, v71
	v_add_f16_e32 v4, v48, v4
	;; [unrolled: 1-line block ×4, first 2 shown]
	v_mul_f16_e32 v57, 0x33a8, v46
	v_fmamk_f16 v48, v43, 0x2fb7, v59
	v_fma_f16 v59, v43, 0x2fb7, -v59
	v_mul_f16_e32 v71, 0xba95, v46
	v_add_f16_e32 v38, v38, v41
	v_fmamk_f16 v76, v43, 0xbbc4, v57
	v_fma_f16 v57, v43, 0xbbc4, -v57
	v_add_f16_e32 v48, v48, v63
	v_add_f16_e32 v59, v59, v68
	v_fmamk_f16 v63, v43, 0x388b, v71
	v_fma_f16 v68, v43, 0x388b, -v71
	v_mul_f16_e32 v71, 0x3770, v46
	v_add_f16_e32 v31, v57, v31
	v_add_f16_e32 v57, v40, v88
	;; [unrolled: 1-line block ×3, first 2 shown]
	v_mul_f16_e32 v46, 0xbb7b, v46
	v_fmamk_f16 v69, v43, 0x3b15, v71
	v_fma_f16 v42, v43, 0x3b15, -v71
	v_add_f16_e32 v57, v57, v85
	v_mul_f16_e32 v41, 0xb3a8, v39
	v_add_f16_e32 v70, v70, v100
	v_add_f16_e32 v53, v69, v53
	v_fmamk_f16 v69, v43, 0xb5ac, v46
	v_fma_f16 v43, v43, 0xb5ac, -v46
	v_add_f16_e32 v46, v57, v82
	v_add_f16_e32 v42, v42, v50
	v_fmamk_f16 v57, v38, 0xbbc4, v41
	v_add_f16_e32 v50, v69, v67
	v_add_f16_e32 v4, v43, v4
	v_add_f16_e32 v43, v46, v78
	v_mul_f16_e32 v67, 0x3770, v39
	v_fma_f16 v41, v38, 0xbbc4, -v41
	v_add_f16_e32 v46, v57, v61
	v_mul_f16_e32 v61, 0xb94e, v39
	v_add_f16_e32 v43, v43, v73
	v_fmamk_f16 v57, v38, 0x3b15, v67
	v_add_f16_e32 v41, v41, v47
	v_fma_f16 v47, v38, 0x3b15, -v67
	v_mul_f16_e32 v67, 0x3a95, v39
	v_add_f16_e32 v43, v43, v0
	v_add_f16_e32 v48, v57, v48
	v_fmamk_f16 v57, v38, 0xb9fd, v61
	v_add_f16_e32 v68, v68, v70
	v_add_f16_e32 v47, v47, v59
	;; [unrolled: 1-line block ×3, first 2 shown]
	v_fma_f16 v59, v38, 0xb9fd, -v61
	v_add_f16_e32 v57, v57, v63
	v_fmamk_f16 v61, v38, 0x388b, v67
	v_mul_f16_e32 v63, 0xbb7b, v39
	v_fma_f16 v67, v38, 0x388b, -v67
	v_add_f16_e32 v43, v43, v75
	v_add_f16_e32 v59, v59, v68
	;; [unrolled: 1-line block ×3, first 2 shown]
	v_fmamk_f16 v68, v38, 0xb5ac, v63
	v_add_f16_e32 v67, v67, v31
	v_add_f16_e32 v31, v43, v80
	v_fma_f16 v63, v38, 0xb5ac, -v63
	v_mul_f16_e32 v39, 0x3bf1, v39
	v_add_f16_e32 v43, v68, v53
	v_sub_f16_e32 v53, v89, v93
	v_add_f16_e32 v31, v31, v84
	v_add_f16_e32 v102, v105, v106
	;; [unrolled: 1-line block ×3, first 2 shown]
	v_fmamk_f16 v63, v38, 0x2fb7, v39
	v_fma_f16 v38, v38, 0x2fb7, -v39
	v_add_f16_e32 v39, v88, v92
	v_mul_f16_e32 v68, 0xbbf1, v53
	v_add_f16_e32 v31, v31, v90
	v_sub_f16_e32 v77, v87, v91
	v_add_f16_e32 v100, v101, v102
	v_add_f16_e32 v50, v63, v50
	v_fmamk_f16 v63, v39, 0x2fb7, v68
	v_add_f16_e32 v69, v31, v92
	v_fma_f16 v31, v39, 0x2fb7, -v68
	v_mul_f16_e32 v68, 0xb94e, v53
	v_add_f16_e32 v85, v85, v90
	v_mul_f16_e32 v88, 0xb3a8, v77
	v_add_f16_e32 v70, v76, v100
	v_add_f16_e32 v4, v38, v4
	v_mul_f16_e32 v38, 0xbb7b, v53
	v_add_f16_e32 v63, v40, v63
	v_add_f16_e32 v31, v40, v31
	v_fmamk_f16 v71, v39, 0xb9fd, v68
	v_mul_f16_e32 v76, 0xb3a8, v53
	v_fmamk_f16 v90, v85, 0xbbc4, v88
	v_fma_f16 v88, v85, 0xbbc4, -v88
	v_mul_f16_e32 v91, 0x3bf1, v77
	v_add_f16_e32 v61, v61, v70
	v_fmamk_f16 v70, v39, 0xb5ac, v38
	v_fma_f16 v38, v39, 0xb5ac, -v38
	v_add_f16_e32 v71, v40, v71
	v_fma_f16 v68, v39, 0xb9fd, -v68
	v_fmamk_f16 v87, v39, 0xbbc4, v76
	v_mul_f16_e32 v89, 0x394e, v77
	v_add_f16_e32 v63, v90, v63
	v_add_f16_e32 v31, v88, v31
	v_fmamk_f16 v88, v85, 0x2fb7, v91
	v_mul_f16_e32 v90, 0x3770, v77
	v_sub_f16_e32 v83, v83, v86
	v_add_f16_e32 v38, v40, v38
	v_fma_f16 v76, v39, 0xbbc4, -v76
	v_add_f16_e32 v68, v40, v68
	v_add_f16_e32 v87, v40, v87
	v_fmamk_f16 v92, v85, 0xb9fd, v89
	v_fma_f16 v89, v85, 0xb9fd, -v89
	v_add_f16_e32 v71, v88, v71
	v_fma_f16 v86, v85, 0x2fb7, -v91
	v_fmamk_f16 v88, v85, 0x3b15, v90
	v_add_f16_e32 v82, v82, v84
	v_mul_f16_e32 v84, 0x3b7b, v83
	v_add_f16_e32 v76, v40, v76
	v_add_f16_e32 v38, v89, v38
	v_fma_f16 v89, v85, 0x3b15, -v90
	v_add_f16_e32 v68, v86, v68
	v_add_f16_e32 v86, v88, v87
	v_mul_f16_e32 v87, 0x3770, v83
	v_fmamk_f16 v88, v82, 0xb5ac, v84
	v_fma_f16 v84, v82, 0xb5ac, -v84
	v_add_f16_e32 v76, v89, v76
	v_mul_f16_e32 v89, 0xba95, v83
	v_fmamk_f16 v90, v82, 0x3b15, v87
	v_fma_f16 v87, v82, 0x3b15, -v87
	v_add_f16_e32 v31, v84, v31
	v_mul_f16_e32 v84, 0xb94e, v83
	v_sub_f16_e32 v79, v79, v81
	v_fma_f16 v81, v82, 0x388b, -v89
	v_add_f16_e32 v38, v87, v38
	v_add_f16_e32 v78, v78, v80
	v_fmamk_f16 v87, v82, 0xb9fd, v84
	v_fma_f16 v84, v82, 0xb9fd, -v84
	v_mul_f16_e32 v80, 0x3770, v79
	v_add_f16_e32 v63, v88, v63
	v_fmamk_f16 v88, v82, 0x388b, v89
	v_add_f16_e32 v68, v81, v68
	v_add_f16_e32 v81, v87, v86
	;; [unrolled: 1-line block ×3, first 2 shown]
	v_fmamk_f16 v84, v78, 0x3b15, v80
	v_fma_f16 v80, v78, 0x3b15, -v80
	v_mul_f16_e32 v87, 0x33a8, v79
	v_add_f16_e32 v70, v40, v70
	v_add_f16_e32 v71, v88, v71
	v_mul_f16_e32 v86, 0xbbf1, v79
	v_add_f16_e32 v31, v80, v31
	v_fmamk_f16 v80, v78, 0xbbc4, v87
	v_add_f16_e32 v70, v92, v70
	v_sub_f16_e32 v72, v74, v72
	v_mul_f16_e32 v74, 0x3a95, v79
	v_fmamk_f16 v88, v78, 0x2fb7, v86
	v_add_f16_e32 v71, v80, v71
	v_fma_f16 v80, v78, 0xbbc4, -v87
	v_add_f16_e32 v70, v90, v70
	v_fma_f16 v86, v78, 0x2fb7, -v86
	v_add_f16_e32 v63, v84, v63
	v_add_f16_e32 v73, v73, v75
	v_mul_f16_e32 v75, 0xba95, v72
	v_fmamk_f16 v84, v78, 0x388b, v74
	v_fma_f16 v74, v78, 0x388b, -v74
	v_add_f16_e32 v68, v80, v68
	v_mul_f16_e32 v80, 0x33a8, v72
	v_add_f16_e32 v70, v88, v70
	v_add_f16_e32 v38, v86, v38
	v_fmamk_f16 v86, v73, 0x388b, v75
	v_add_f16_e32 v81, v84, v81
	v_add_f16_e32 v74, v74, v76
	v_fma_f16 v75, v73, 0x388b, -v75
	v_fmamk_f16 v76, v73, 0xbbc4, v80
	v_mul_f16_e32 v84, 0x3770, v72
	v_fma_f16 v80, v73, 0xbbc4, -v80
	v_pk_mul_f16 v79, 0xbb7b394e, v79 op_sel_hi:[1,0]
	v_add_f16_e32 v75, v75, v31
	v_add_f16_e32 v70, v76, v70
	v_pk_mul_f16 v31, 0xb770ba95, v53 op_sel_hi:[1,0]
	v_fmamk_f16 v53, v73, 0x3b15, v84
	v_mul_f16_e32 v76, 0xbb7b, v72
	v_add_f16_e32 v38, v80, v38
	v_fma_f16 v80, v73, 0x3b15, -v84
	v_pk_fma_f16 v84, 0x3b15388b, v39, v31 op_sel_hi:[1,0,1]
	v_add_f16_e32 v53, v53, v71
	v_pk_mul_f16 v71, 0xba95bb7b, v77 op_sel_hi:[1,0]
	v_fmamk_f16 v77, v73, 0xb5ac, v76
	v_add_f16_e32 v68, v80, v68
	v_add_f16_sdwa v80, v40, v84 dst_sel:DWORD dst_unused:UNUSED_PAD src0_sel:DWORD src1_sel:WORD_1
	v_pk_fma_f16 v31, 0x3b15388b, v39, v31 op_sel_hi:[1,0,1] neg_lo:[0,0,1] neg_hi:[0,0,1]
	v_pk_fma_f16 v39, 0x388bb5ac, v85, v71 op_sel_hi:[1,0,1]
	v_add_f16_e32 v77, v77, v81
	v_pk_mul_f16 v81, 0xbbf1b3a8, v83 op_sel_hi:[1,0]
	v_add_f16_e32 v83, v40, v84
	v_pk_add_f16 v31, v40, v31 op_sel_hi:[0,1]
	v_add_f16_sdwa v40, v39, v80 dst_sel:DWORD dst_unused:UNUSED_PAD src0_sel:WORD_1 src1_sel:DWORD
	v_pk_fma_f16 v71, 0x388bb5ac, v85, v71 op_sel_hi:[1,0,1] neg_lo:[0,0,1] neg_hi:[0,0,1]
	v_pk_fma_f16 v80, 0x2fb7bbc4, v82, v81 op_sel_hi:[1,0,1]
	v_add_f16_e32 v39, v39, v83
	v_sub_f16_e32 v2, v2, v3
	v_pk_mul_f16 v3, 0xb94e3bf1, v72 op_sel_hi:[1,0]
	v_pk_add_f16 v31, v71, v31
	v_add_f16_sdwa v40, v80, v40 dst_sel:DWORD dst_unused:UNUSED_PAD src0_sel:WORD_1 src1_sel:DWORD
	v_pk_fma_f16 v71, 0x2fb7bbc4, v82, v81 op_sel_hi:[1,0,1] neg_lo:[0,0,1] neg_hi:[0,0,1]
	v_pk_fma_f16 v81, 0xb5acb9fd, v78, v79 op_sel_hi:[1,0,1]
	v_add_f16_e32 v39, v80, v39
	v_pk_fma_f16 v72, 0xb9fd2fb7, v73, v3 op_sel_hi:[1,0,1]
	v_fma_f16 v76, v73, 0xb5ac, -v76
	v_pk_add_f16 v31, v71, v31
	v_add_f16_sdwa v40, v81, v40 dst_sel:DWORD dst_unused:UNUSED_PAD src0_sel:WORD_1 src1_sel:DWORD
	v_pk_fma_f16 v71, 0xb5acb9fd, v78, v79 op_sel_hi:[1,0,1] neg_lo:[0,0,1] neg_hi:[0,0,1]
	v_add_f16_e32 v39, v81, v39
	v_add_f16_e32 v0, v0, v1
	v_pk_mul_f16 v1, 0xb3a83770, v2 op_sel_hi:[1,0]
	v_add_f16_sdwa v40, v72, v40 dst_sel:DWORD dst_unused:UNUSED_PAD src0_sel:WORD_1 src1_sel:DWORD
	v_pk_add_f16 v31, v71, v31
	v_pk_fma_f16 v3, 0xb9fd2fb7, v73, v3 op_sel_hi:[1,0,1] neg_lo:[0,0,1] neg_hi:[0,0,1]
	v_add_f16_e32 v39, v72, v39
	v_mul_f16_e32 v72, 0xb94e, v2
	v_add_f16_e32 v63, v86, v63
	v_pk_fma_f16 v71, 0xbbc43b15, v0, v1 op_sel_hi:[1,0,1]
	v_add_f16_e32 v73, v76, v74
	v_pk_add_f16 v3, v3, v31
	v_pk_fma_f16 v1, 0xbbc43b15, v0, v1 op_sel_hi:[1,0,1] neg_lo:[0,0,1] neg_hi:[0,0,1]
	v_mul_f16_e32 v74, 0x3a95, v2
	v_fmamk_f16 v76, v0, 0xb9fd, v72
	v_add_f16_sdwa v40, v71, v40 dst_sel:DWORD dst_unused:UNUSED_PAD src0_sel:WORD_1 src1_sel:DWORD
	v_add_f16_e32 v39, v71, v39
	v_pk_add_f16 v31, v1, v3
	v_fmamk_f16 v1, v0, 0x388b, v74
	v_add_f16_e32 v3, v76, v63
	v_mul_f16_e32 v63, 0xbb7b, v2
	v_mul_f16_e32 v2, 0x3bf1, v2
	v_fma_f16 v71, v0, 0xb9fd, -v72
	v_add_f16_e32 v1, v1, v70
	v_fma_f16 v70, v0, 0x388b, -v74
	v_fmamk_f16 v72, v0, 0xb5ac, v63
	v_fma_f16 v63, v0, 0xb5ac, -v63
	v_fmamk_f16 v74, v0, 0x2fb7, v2
	v_fma_f16 v0, v0, 0x2fb7, -v2
	v_add_f16_e32 v2, v70, v38
	v_add_f16_e32 v38, v72, v53
	;; [unrolled: 1-line block ×6, first 2 shown]
	s_waitcnt lgkmcnt(0)
	s_barrier
	buffer_gl0_inv
	ds_write_b16 v94, v32
	ds_write_b16 v94, v46 offset:52
	ds_write_b16 v94, v48 offset:104
	;; [unrolled: 1-line block ×12, first 2 shown]
	ds_write_b16 v95, v69
	ds_write_b16 v95, v40 offset:52
	ds_write_b16 v95, v39 offset:104
	;; [unrolled: 1-line block ×7, first 2 shown]
	v_add_nc_u32_e32 v0, v28, v98
	v_lshrrev_b32_e32 v32, 16, v31
	ds_write_b16 v95, v53 offset:416
	ds_write_b16 v95, v2 offset:468
	;; [unrolled: 1-line block ×5, first 2 shown]
	s_waitcnt lgkmcnt(0)
	s_barrier
	buffer_gl0_inv
	v_add_nc_u32_e32 v1, v27, v34
	ds_read_u16 v40, v29 offset:2132
	ds_read_u16 v48, v29 offset:2236
	ds_read_u16 v43, v97
	ds_read_u16 v57, v0
	;; [unrolled: 1-line block ×3, first 2 shown]
	ds_read_u16 v39, v29 offset:676
	ds_read_u16 v41, v29 offset:780
	;; [unrolled: 1-line block ×11, first 2 shown]
	ds_read_u16 v38, v1
	ds_read_u16 v67, v96
	ds_read_u16 v46, v29 offset:1352
	ds_read_u16 v71, v29 offset:1196
	;; [unrolled: 1-line block ×4, first 2 shown]
	ds_read_u16 v30, v30
	ds_read_u16 v73, v29 offset:2548
                                        ; implicit-def: $vgpr27
                                        ; implicit-def: $vgpr28
	s_and_saveexec_b32 s1, s0
	s_cbranch_execz .LBB0_17
; %bb.16:
	ds_read_u16 v32, v29 offset:1300
	ds_read_u16 v27, v29 offset:1976
	ds_read_u16 v31, v33
	ds_read_u16 v28, v29 offset:2652
	v_mov_b32_e32 v37, v26
.LBB0_17:
	s_or_b32 exec_lo, exec_lo, s1
	s_and_saveexec_b32 s0, vcc_lo
	s_cbranch_execz .LBB0_20
; %bb.18:
	v_mul_i32_i24_e32 v3, 3, v25
	v_mov_b32_e32 v4, 0
	v_add_nc_u32_e32 v26, 52, v20
	v_add_nc_u32_e32 v29, 0x68, v20
	;; [unrolled: 1-line block ×3, first 2 shown]
	v_lshlrev_b64 v[16:17], 2, v[16:17]
	v_lshlrev_b64 v[0:1], 2, v[3:4]
	v_mul_i32_i24_e32 v3, 3, v24
	v_mul_hi_u32 v33, 0x60f25deb, v26
	v_mul_hi_u32 v86, 0x60f25deb, v29
	;; [unrolled: 1-line block ×3, first 2 shown]
	v_lshlrev_b64 v[24:25], 2, v[3:4]
	v_add_co_u32 v0, vcc_lo, s8, v0
	v_add_co_ci_u32_e32 v1, vcc_lo, s9, v1, vcc_lo
	v_mul_i32_i24_e32 v3, 3, v23
	v_add_co_u32 v24, vcc_lo, s8, v24
	v_add_co_ci_u32_e32 v25, vcc_lo, s9, v25, vcc_lo
	v_lshlrev_b64 v[74:75], 2, v[3:4]
	v_mul_i32_i24_e32 v3, 3, v22
	s_clause 0x1
	global_load_dwordx3 v[0:2], v[0:1], off offset:1344
	global_load_dwordx3 v[23:25], v[24:25], off offset:1344
	v_lshrrev_b32_e32 v33, 7, v33
	v_lshrrev_b32_e32 v90, 7, v86
	v_lshlrev_b64 v[77:78], 2, v[3:4]
	v_mul_i32_i24_e32 v3, 3, v21
	v_add_co_u32 v74, vcc_lo, s8, v74
	v_add_co_ci_u32_e32 v75, vcc_lo, s9, v75, vcc_lo
	v_lshlrev_b64 v[21:22], 2, v[3:4]
	v_add_co_u32 v77, vcc_lo, s8, v77
	global_load_dwordx3 v[74:76], v[74:75], off offset:1344
	v_add_co_ci_u32_e32 v78, vcc_lo, s9, v78, vcc_lo
	v_mul_u32_u24_e32 v3, 3, v20
	v_add_co_u32 v21, vcc_lo, s8, v21
	global_load_dwordx3 v[77:79], v[77:78], off offset:1344
	v_add_co_ci_u32_e32 v22, vcc_lo, s9, v22, vcc_lo
	v_lshlrev_b32_e32 v3, 2, v3
	v_lshrrev_b32_e32 v116, 7, v87
	global_load_dwordx3 v[80:82], v[21:22], off offset:1344
	v_mul_hi_u32 v22, 0x60f25deb, v20
	global_load_dwordx3 v[83:85], v3, s[8:9] offset:1344
	v_mul_lo_u32 v3, s5, v18
	v_mul_lo_u32 v21, s4, v19
	v_mad_u64_u32 v[18:19], null, s4, v18, 0
	v_mul_u32_u24_e32 v117, 0x152, v116
	v_lshrrev_b32_e32 v22, 7, v22
	v_add3_u32 v19, v19, v21, v3
	v_mul_u32_u24_e32 v3, 0x152, v22
	v_mul_u32_u24_e32 v21, 0x152, v90
	v_lshlrev_b64 v[18:19], 2, v[18:19]
	v_sub_nc_u32_e32 v94, v20, v3
	v_mul_u32_u24_e32 v3, 0x152, v33
	v_add_co_u32 v22, vcc_lo, s14, v18
	v_add_co_ci_u32_e32 v86, vcc_lo, s15, v19, vcc_lo
	v_mad_u64_u32 v[18:19], null, s2, v94, 0
	v_add_nc_u32_e32 v107, 0x152, v94
	v_sub_nc_u32_e32 v3, v26, v3
	v_add_nc_u32_e32 v109, 0x2a4, v94
	v_add_nc_u32_e32 v110, 0x3f6, v94
	v_sub_nc_u32_e32 v26, v29, v21
	v_add_co_u32 v16, vcc_lo, v22, v16
	v_mad_u64_u32 v[21:22], null, s2, v107, 0
	v_mad_u32_u24 v29, 0x548, v33, v3
	v_add_co_ci_u32_e32 v17, vcc_lo, v86, v17, vcc_lo
	v_mad_u64_u32 v[86:87], null, s2, v109, 0
	v_mad_u64_u32 v[88:89], null, s2, v110, 0
	v_mad_u32_u24 v33, 0x548, v90, v26
	v_mov_b32_e32 v3, v19
	v_mad_u64_u32 v[90:91], null, s2, v29, 0
	v_add_nc_u32_e32 v112, 0x152, v29
	v_add_nc_u32_e32 v113, 0x2a4, v29
	;; [unrolled: 1-line block ×3, first 2 shown]
	v_mad_u64_u32 v[92:93], null, s2, v33, 0
	v_add_nc_u32_e32 v118, 0x152, v33
	v_mad_u64_u32 v[94:95], null, s3, v94, v[3:4]
	v_mov_b32_e32 v3, v22
	v_mov_b32_e32 v19, v87
	v_add_nc_u32_e32 v120, 0x3f6, v33
	v_mov_b32_e32 v22, v89
	v_mad_u64_u32 v[95:96], null, s2, v112, 0
	v_mad_u64_u32 v[97:98], null, s2, v113, 0
	;; [unrolled: 1-line block ×5, first 2 shown]
	v_mov_b32_e32 v3, v91
	v_mad_u64_u32 v[108:109], null, s3, v109, v[19:20]
	v_mad_u64_u32 v[105:106], null, s2, v120, 0
	v_mov_b32_e32 v19, v94
	v_add_nc_u32_e32 v119, 0x2a4, v33
	v_mov_b32_e32 v26, v98
	v_mov_b32_e32 v87, v108
	v_lshlrev_b64 v[18:19], 2, v[18:19]
	v_mad_u64_u32 v[103:104], null, s2, v119, 0
	v_lshlrev_b64 v[86:87], 2, v[86:87]
	v_add_co_u32 v18, vcc_lo, v16, v18
	v_add_co_ci_u32_e32 v19, vcc_lo, v17, v19, vcc_lo
	v_mov_b32_e32 v91, v104
	s_waitcnt vmcnt(5)
	v_mul_f16_sdwa v104, v66, v1 dst_sel:DWORD dst_unused:UNUSED_PAD src0_sel:DWORD src1_sel:WORD_1
	s_waitcnt vmcnt(4)
	v_mad_u64_u32 v[109:110], null, s3, v110, v[22:23]
	v_mov_b32_e32 v22, v93
	v_mad_u64_u32 v[93:94], null, s3, v29, v[3:4]
	v_mov_b32_e32 v3, v96
	v_mov_b32_e32 v29, v100
	v_mad_u64_u32 v[110:111], null, s3, v33, v[22:23]
	v_mov_b32_e32 v33, v102
	v_mov_b32_e32 v94, v106
	;; [unrolled: 1-line block ×3, first 2 shown]
	v_mad_u64_u32 v[106:107], null, s3, v112, v[3:4]
	s_waitcnt lgkmcnt(2)
	v_mad_u64_u32 v[107:108], null, s3, v113, v[26:27]
	v_mov_b32_e32 v89, v109
	s_waitcnt lgkmcnt(1)
	v_mad_u64_u32 v[108:109], null, s3, v114, v[29:30]
	v_mad_u64_u32 v[111:112], null, s3, v118, v[33:34]
	v_mov_b32_e32 v96, v106
	v_mov_b32_e32 v98, v107
	v_mad_u64_u32 v[112:113], null, s3, v119, v[91:92]
	v_mov_b32_e32 v100, v108
	v_mad_u64_u32 v[113:114], null, s3, v120, v[94:95]
	v_mov_b32_e32 v102, v111
	v_lshlrev_b64 v[94:95], 2, v[95:96]
	v_lshlrev_b64 v[96:97], 2, v[97:98]
	;; [unrolled: 1-line block ×3, first 2 shown]
	v_lshrrev_b32_e32 v3, 16, v0
	v_lshlrev_b64 v[100:101], 2, v[101:102]
	v_lshrrev_b32_e32 v26, 16, v2
	v_mul_f16_sdwa v29, v72, v1 dst_sel:DWORD dst_unused:UNUSED_PAD src0_sel:DWORD src1_sel:WORD_1
	v_mul_f16_e32 v33, v71, v0
	s_waitcnt lgkmcnt(0)
	v_mul_f16_e32 v102, v73, v2
	v_fmac_f16_e32 v104, v72, v1
	v_mul_f16_e32 v72, v68, v23
	v_fma_f16 v29, v66, v1, -v29
	v_fmac_f16_e32 v33, v64, v3
	v_fmac_f16_e32 v102, v65, v26
	v_mul_f16_e32 v1, v71, v3
	v_mul_f16_e32 v3, v73, v26
	v_lshrrev_b32_e32 v26, 16, v23
	v_lshrrev_b32_e32 v66, 16, v25
	v_mul_f16_sdwa v71, v69, v24 dst_sel:DWORD dst_unused:UNUSED_PAD src0_sel:DWORD src1_sel:WORD_1
	v_mul_f16_e32 v73, v70, v25
	v_mul_f16_sdwa v106, v62, v24 dst_sel:DWORD dst_unused:UNUSED_PAD src0_sel:DWORD src1_sel:WORD_1
	v_fma_f16 v0, v64, v0, -v1
	v_fma_f16 v1, v65, v2, -v3
	;; [unrolled: 1-line block ×3, first 2 shown]
	v_fmac_f16_e32 v72, v55, v26
	v_fmac_f16_e32 v73, v58, v66
	;; [unrolled: 1-line block ×3, first 2 shown]
	v_mul_f16_e32 v3, v68, v26
	v_mul_f16_e32 v24, v70, v66
	s_waitcnt vmcnt(3)
	v_lshrrev_b32_e32 v26, 16, v76
	v_mul_f16_sdwa v62, v61, v75 dst_sel:DWORD dst_unused:UNUSED_PAD src0_sel:DWORD src1_sel:WORD_1
	v_mul_f16_sdwa v64, v54, v74 dst_sel:DWORD dst_unused:UNUSED_PAD src0_sel:DWORD src1_sel:WORD_1
	v_mul_f16_e32 v65, v63, v76
	v_mul_f16_sdwa v66, v56, v75 dst_sel:DWORD dst_unused:UNUSED_PAD src0_sel:DWORD src1_sel:WORD_1
	v_mul_f16_sdwa v68, v59, v74 dst_sel:DWORD dst_unused:UNUSED_PAD src0_sel:DWORD src1_sel:WORD_1
	v_sub_f16_e32 v29, v60, v29
	v_sub_f16_e32 v104, v67, v104
	;; [unrolled: 1-line block ×6, first 2 shown]
	v_fma_f16 v3, v55, v23, -v3
	v_fma_f16 v23, v58, v25, -v24
	v_fma_f16 v24, v56, v75, -v62
	v_fmac_f16_e32 v64, v59, v74
	v_fmac_f16_e32 v65, v52, v26
	v_fmac_f16_e32 v66, v61, v75
	v_fma_f16 v25, v54, v74, -v68
	v_mul_f16_e32 v26, v63, v26
	s_waitcnt vmcnt(2)
	v_mul_f16_sdwa v54, v53, v78 dst_sel:DWORD dst_unused:UNUSED_PAD src0_sel:DWORD src1_sel:WORD_1
	v_mul_f16_sdwa v55, v45, v77 dst_sel:DWORD dst_unused:UNUSED_PAD src0_sel:DWORD src1_sel:WORD_1
	v_mul_f16_sdwa v56, v36, v79 dst_sel:DWORD dst_unused:UNUSED_PAD src0_sel:DWORD src1_sel:WORD_1
	v_mul_f16_sdwa v58, v51, v78 dst_sel:DWORD dst_unused:UNUSED_PAD src0_sel:DWORD src1_sel:WORD_1
	v_mul_f16_sdwa v59, v50, v77 dst_sel:DWORD dst_unused:UNUSED_PAD src0_sel:DWORD src1_sel:WORD_1
	v_mul_f16_sdwa v61, v48, v79 dst_sel:DWORD dst_unused:UNUSED_PAD src0_sel:DWORD src1_sel:WORD_1
	v_fma_f16 v60, v60, 2.0, -v29
	v_add_f16_e32 v62, v104, v1
	v_fma_f16 v0, v0, 2.0, -v1
	v_sub_f16_e32 v63, v2, v70
	v_sub_f16_e32 v1, v3, v23
	v_fma_f16 v23, v49, 2.0, -v2
	v_fma_f16 v49, v57, 2.0, -v71
	;; [unrolled: 1-line block ×3, first 2 shown]
	v_sub_f16_e32 v24, v44, v24
	v_sub_f16_e32 v65, v64, v65
	;; [unrolled: 1-line block ×3, first 2 shown]
	v_fma_f16 v26, v52, v76, -v26
	v_fma_f16 v51, v51, v78, -v54
	v_fmac_f16_e32 v55, v50, v77
	v_fmac_f16_e32 v56, v48, v79
	;; [unrolled: 1-line block ×3, first 2 shown]
	v_fma_f16 v45, v45, v77, -v59
	v_fma_f16 v36, v36, v79, -v61
	s_waitcnt vmcnt(1)
	v_mul_f16_sdwa v50, v12, v80 dst_sel:DWORD dst_unused:UNUSED_PAD src0_sel:DWORD src1_sel:WORD_1
	v_mul_f16_sdwa v52, v35, v82 dst_sel:DWORD dst_unused:UNUSED_PAD src0_sel:DWORD src1_sel:WORD_1
	;; [unrolled: 1-line block ×5, first 2 shown]
	s_waitcnt vmcnt(0)
	v_mul_f16_sdwa v61, v46, v84 dst_sel:DWORD dst_unused:UNUSED_PAD src0_sel:DWORD src1_sel:WORD_1
	v_mul_f16_sdwa v68, v10, v83 dst_sel:DWORD dst_unused:UNUSED_PAD src0_sel:DWORD src1_sel:WORD_1
	v_mul_f16_sdwa v70, v13, v85 dst_sel:DWORD dst_unused:UNUSED_PAD src0_sel:DWORD src1_sel:WORD_1
	v_mul_f16_sdwa v72, v15, v84 dst_sel:DWORD dst_unused:UNUSED_PAD src0_sel:DWORD src1_sel:WORD_1
	v_mul_f16_sdwa v73, v39, v83 dst_sel:DWORD dst_unused:UNUSED_PAD src0_sel:DWORD src1_sel:WORD_1
	v_mul_f16_sdwa v74, v47, v85 dst_sel:DWORD dst_unused:UNUSED_PAD src0_sel:DWORD src1_sel:WORD_1
	v_mul_f16_sdwa v48, v42, v81 dst_sel:DWORD dst_unused:UNUSED_PAD src0_sel:DWORD src1_sel:WORD_1
	v_sub_f16_e32 v76, v60, v0
	v_fma_f16 v77, v2, 2.0, -v63
	v_add_f16_e32 v78, v71, v1
	v_fma_f16 v0, v3, 2.0, -v1
	v_sub_f16_e32 v57, v49, v57
	v_sub_f16_e32 v1, v25, v26
	v_fma_f16 v2, v44, 2.0, -v24
	v_fma_f16 v3, v43, 2.0, -v66
	;; [unrolled: 1-line block ×3, first 2 shown]
	v_sub_f16_e32 v43, v11, v51
	v_sub_f16_e32 v44, v55, v56
	;; [unrolled: 1-line block ×4, first 2 shown]
	v_fmac_f16_e32 v50, v41, v80
	v_fmac_f16_e32 v52, v40, v82
	;; [unrolled: 1-line block ×3, first 2 shown]
	v_fma_f16 v12, v12, v80, -v54
	v_fma_f16 v35, v35, v82, -v59
	;; [unrolled: 1-line block ×3, first 2 shown]
	v_fmac_f16_e32 v68, v39, v83
	v_fmac_f16_e32 v70, v47, v85
	;; [unrolled: 1-line block ×3, first 2 shown]
	v_fma_f16 v10, v10, v83, -v73
	v_fma_f16 v13, v13, v85, -v74
	v_lshlrev_b64 v[21:22], 2, v[21:22]
	v_fma_f16 v14, v14, v81, -v48
	v_sub_f16_e32 v41, v23, v0
	v_fma_f16 v42, v49, 2.0, -v57
	v_add_f16_e32 v46, v66, v1
	v_fma_f16 v0, v25, 2.0, -v1
	v_sub_f16_e32 v25, v3, v26
	v_sub_f16_e32 v26, v43, v44
	v_add_f16_e32 v47, v51, v36
	v_fma_f16 v1, v11, 2.0, -v43
	v_fma_f16 v11, v45, 2.0, -v36
	;; [unrolled: 1-line block ×4, first 2 shown]
	v_sub_f16_e32 v44, v50, v52
	v_sub_f16_e32 v45, v30, v53
	v_sub_f16_e32 v35, v12, v35
	v_sub_f16_e32 v15, v8, v15
	v_sub_f16_e32 v48, v68, v70
	v_sub_f16_e32 v49, v34, v72
	v_sub_f16_e32 v13, v10, v13
	v_mov_b32_e32 v91, v93
	v_sub_f16_e32 v14, v9, v14
	v_lshlrev_b64 v[88:89], 2, v[88:89]
	v_add_co_u32 v21, vcc_lo, v16, v21
	v_fma_f16 v54, v3, 2.0, -v25
	v_fma_f16 v3, v51, 2.0, -v47
	v_add_f16_e32 v51, v45, v35
	v_fma_f16 v12, v12, 2.0, -v35
	v_fma_f16 v35, v50, 2.0, -v44
	v_add_f16_e32 v50, v49, v13
	v_fma_f16 v8, v8, 2.0, -v15
	v_fma_f16 v10, v10, 2.0, -v13
	;; [unrolled: 1-line block ×4, first 2 shown]
	v_mov_b32_e32 v93, v110
	v_add_co_ci_u32_e32 v22, vcc_lo, v17, v22, vcc_lo
	v_lshlrev_b64 v[90:91], 2, v[90:91]
	v_add_co_u32 v86, vcc_lo, v16, v86
	v_fma_f16 v9, v9, 2.0, -v14
	v_fma_f16 v30, v30, 2.0, -v45
	v_add_co_ci_u32_e32 v87, vcc_lo, v17, v87, vcc_lo
	v_sub_f16_e32 v10, v8, v10
	v_sub_f16_e32 v34, v13, v34
	v_lshlrev_b64 v[92:93], 2, v[92:93]
	v_add_co_u32 v88, vcc_lo, v16, v88
	v_sub_f16_e32 v53, v2, v0
	v_fma_f16 v0, v43, 2.0, -v26
	v_sub_f16_e32 v38, v36, v38
	v_sub_f16_e32 v43, v14, v44
	;; [unrolled: 1-line block ×3, first 2 shown]
	v_add_co_ci_u32_e32 v89, vcc_lo, v17, v89, vcc_lo
	v_add_co_u32 v90, vcc_lo, v16, v90
	v_sub_f16_e32 v11, v1, v11
	v_sub_f16_e32 v12, v9, v12
	;; [unrolled: 1-line block ×3, first 2 shown]
	v_fma_f16 v8, v8, 2.0, -v10
	v_fma_f16 v13, v13, 2.0, -v34
	v_add_co_ci_u32_e32 v91, vcc_lo, v17, v91, vcc_lo
	v_fma_f16 v48, v2, 2.0, -v53
	v_fma_f16 v2, v36, 2.0, -v38
	;; [unrolled: 1-line block ×5, first 2 shown]
	v_add_co_u32 v92, vcc_lo, v16, v92
	v_add_co_ci_u32_e32 v93, vcc_lo, v17, v93, vcc_lo
	v_fma_f16 v1, v1, 2.0, -v11
	v_fma_f16 v9, v9, 2.0, -v12
	;; [unrolled: 1-line block ×3, first 2 shown]
	v_add_co_u32 v94, vcc_lo, v16, v94
	v_fma_f16 v14, v14, 2.0, -v43
	v_pack_b32_f16 v8, v8, v13
	v_pack_b32_f16 v15, v15, v45
	v_add_co_ci_u32_e32 v95, vcc_lo, v17, v95, vcc_lo
	v_pack_b32_f16 v10, v10, v34
	v_add_co_u32 v96, vcc_lo, v16, v96
	v_pack_b32_f16 v44, v44, v50
	v_pack_b32_f16 v1, v1, v2
	;; [unrolled: 1-line block ×3, first 2 shown]
	v_add_co_ci_u32_e32 v97, vcc_lo, v17, v97, vcc_lo
	v_pack_b32_f16 v13, v14, v36
	v_pack_b32_f16 v12, v12, v35
	global_store_dword v[18:19], v8, off
	global_store_dword v[21:22], v15, off
	;; [unrolled: 1-line block ×7, first 2 shown]
	v_sub_nc_u32_e32 v2, v115, v117
	v_add_co_u32 v98, vcc_lo, v16, v98
	v_add_co_ci_u32_e32 v99, vcc_lo, v17, v99, vcc_lo
	v_add_co_u32 v100, vcc_lo, v16, v100
	v_mad_u32_u24 v15, 0x548, v116, v2
	v_add_co_ci_u32_e32 v101, vcc_lo, v17, v101, vcc_lo
	v_pack_b32_f16 v43, v43, v51
	v_pack_b32_f16 v3, v0, v3
	v_add_nc_u32_e32 v18, 0x152, v15
	global_store_dword v[98:99], v43, off
	global_store_dword v[92:93], v1, off
	;; [unrolled: 1-line block ×3, first 2 shown]
	v_mad_u64_u32 v[2:3], null, s2, v15, 0
	v_fma_f16 v67, v67, 2.0, -v104
	v_fma_f16 v75, v104, 2.0, -v62
	v_mov_b32_e32 v104, v112
	v_pack_b32_f16 v21, v11, v38
	v_mad_u64_u32 v[10:11], null, s2, v18, 0
	v_mov_b32_e32 v106, v113
	v_add_nc_u32_e32 v22, 0xd0, v20
	v_lshlrev_b64 v[0:1], 2, v[103:104]
	v_mad_u64_u32 v[12:13], null, s3, v15, v[3:4]
	v_lshlrev_b64 v[8:9], 2, v[105:106]
	v_add_nc_u32_e32 v30, 0x2a4, v15
	v_mul_hi_u32 v34, 0x60f25deb, v22
	v_mov_b32_e32 v3, v11
	v_add_co_u32 v0, vcc_lo, v16, v0
	v_add_co_ci_u32_e32 v1, vcc_lo, v17, v1, vcc_lo
	v_mad_u64_u32 v[13:14], null, s2, v30, 0
	v_add_co_u32 v8, vcc_lo, v16, v8
	v_mad_u64_u32 v[18:19], null, s3, v18, v[3:4]
	v_mov_b32_e32 v3, v12
	v_add_co_ci_u32_e32 v9, vcc_lo, v17, v9, vcc_lo
	v_pack_b32_f16 v11, v26, v47
	v_lshrrev_b32_e32 v19, 7, v34
	global_store_dword v[0:1], v21, off
	global_store_dword v[8:9], v11, off
	v_lshlrev_b64 v[1:2], 2, v[2:3]
	v_mov_b32_e32 v0, v14
	v_mul_u32_u24_e32 v12, 0x152, v19
	v_mov_b32_e32 v11, v18
	v_add_nc_u32_e32 v15, 0x3f6, v15
	v_sub_f16_e32 v79, v24, v65
	v_mad_u64_u32 v[8:9], null, s3, v30, v[0:1]
	v_sub_nc_u32_e32 v9, v22, v12
	v_add_co_u32 v0, vcc_lo, v16, v1
	v_add_co_ci_u32_e32 v1, vcc_lo, v17, v2, vcc_lo
	v_lshlrev_b64 v[2:3], 2, v[10:11]
	v_mad_u32_u24 v30, 0x548, v19, v9
	v_mad_u64_u32 v[9:10], null, s2, v15, 0
	v_mov_b32_e32 v14, v8
	v_fma_f16 v24, v24, 2.0, -v79
	v_mad_u64_u32 v[11:12], null, s2, v30, 0
	v_add_nc_u32_e32 v34, 0x152, v30
	v_lshlrev_b64 v[13:14], 2, v[13:14]
	v_mov_b32_e32 v8, v10
	v_fma_f16 v52, v66, 2.0, -v46
	v_add_co_u32 v2, vcc_lo, v16, v2
	v_mad_u64_u32 v[21:22], null, s2, v34, 0
	v_mad_u64_u32 v[18:19], null, s3, v15, v[8:9]
	v_mov_b32_e32 v8, v12
	v_add_co_ci_u32_e32 v3, vcc_lo, v17, v3, vcc_lo
	v_pack_b32_f16 v26, v48, v54
	v_add_co_u32 v12, vcc_lo, v16, v13
	v_mov_b32_e32 v10, v18
	v_pack_b32_f16 v24, v24, v52
	v_add_co_ci_u32_e32 v13, vcc_lo, v17, v14, vcc_lo
	v_mad_u64_u32 v[14:15], null, s3, v30, v[8:9]
	v_pack_b32_f16 v8, v53, v25
	global_store_dword v[0:1], v26, off
	global_store_dword v[2:3], v24, off
	v_lshlrev_b64 v[1:2], 2, v[9:10]
	v_mov_b32_e32 v0, v22
	v_add_nc_u32_e32 v18, 0x104, v20
	global_store_dword v[12:13], v8, off
	v_mov_b32_e32 v12, v14
	v_add_nc_u32_e32 v14, 0x2a4, v30
	v_mad_u64_u32 v[8:9], null, s3, v34, v[0:1]
	v_add_co_u32 v0, vcc_lo, v16, v1
	v_add_nc_u32_e32 v19, 0x3f6, v30
	v_add_co_ci_u32_e32 v1, vcc_lo, v17, v2, vcc_lo
	v_lshlrev_b64 v[2:3], 2, v[11:12]
	v_mul_hi_u32 v12, 0x60f25deb, v18
	v_mov_b32_e32 v22, v8
	v_mad_u64_u32 v[8:9], null, s2, v14, 0
	v_mad_u64_u32 v[10:11], null, s2, v19, 0
	v_add_co_u32 v2, vcc_lo, v16, v2
	v_lshrrev_b32_e32 v25, 7, v12
	v_lshlrev_b64 v[12:13], 2, v[21:22]
	v_add_co_ci_u32_e32 v3, vcc_lo, v17, v3, vcc_lo
	v_mad_u64_u32 v[14:15], null, s3, v14, v[9:10]
	v_mul_u32_u24_e32 v15, 0x152, v25
	v_mov_b32_e32 v9, v11
	v_add_co_u32 v11, vcc_lo, v16, v12
	v_add_co_ci_u32_e32 v12, vcc_lo, v17, v13, vcc_lo
	v_sub_nc_u32_e32 v13, v18, v15
	v_fma_f16 v23, v23, 2.0, -v41
	v_fma_f16 v40, v71, 2.0, -v78
	v_mad_u64_u32 v[18:19], null, s3, v19, v[9:10]
	v_pack_b32_f16 v24, v79, v46
	v_mad_u32_u24 v19, 0x548, v25, v13
	v_pack_b32_f16 v23, v23, v42
	v_pack_b32_f16 v15, v77, v40
	global_store_dword v[0:1], v24, off
	global_store_dword v[2:3], v23, off
	;; [unrolled: 1-line block ×3, first 2 shown]
	v_mad_u64_u32 v[2:3], null, s2, v19, 0
	v_mov_b32_e32 v9, v14
	v_add_nc_u32_e32 v14, 0x152, v19
	v_mov_b32_e32 v11, v18
	v_add_nc_u32_e32 v23, 0x3f6, v19
	v_add_nc_u32_e32 v22, 0x2a4, v19
	v_lshlrev_b64 v[0:1], 2, v[8:9]
	v_mad_u64_u32 v[8:9], null, s2, v14, 0
	v_mad_u64_u32 v[12:13], null, s3, v19, v[3:4]
	v_lshlrev_b64 v[10:11], 2, v[10:11]
	v_add_co_u32 v0, vcc_lo, v16, v0
	v_mad_u64_u32 v[18:19], null, s2, v23, 0
	v_add_co_ci_u32_e32 v1, vcc_lo, v17, v1, vcc_lo
	v_mad_u64_u32 v[13:14], null, s3, v14, v[9:10]
	v_pack_b32_f16 v21, v41, v57
	v_mad_u64_u32 v[14:15], null, s2, v22, 0
	v_mov_b32_e32 v3, v12
	v_add_co_u32 v10, vcc_lo, v16, v10
	global_store_dword v[0:1], v21, off
	v_add_co_ci_u32_e32 v11, vcc_lo, v17, v11, vcc_lo
	v_lshlrev_b64 v[1:2], 2, v[2:3]
	v_pack_b32_f16 v24, v63, v78
	v_mov_b32_e32 v0, v19
	v_mov_b32_e32 v9, v13
	v_mad_u64_u32 v[12:13], null, s3, v22, v[15:16]
	global_store_dword v[10:11], v24, off
	v_mad_u64_u32 v[10:11], null, s3, v23, v[0:1]
	v_sub_f16_e32 v102, v33, v102
	v_lshlrev_b64 v[8:9], 2, v[8:9]
	v_add_co_u32 v1, vcc_lo, v16, v1
	v_mov_b32_e32 v15, v12
	v_fma_f16 v33, v33, 2.0, -v102
	v_mov_b32_e32 v19, v10
	v_add_co_ci_u32_e32 v2, vcc_lo, v17, v2, vcc_lo
	v_lshlrev_b64 v[11:12], 2, v[14:15]
	v_sub_f16_e32 v33, v67, v33
	v_sub_f16_e32 v69, v29, v102
	v_add_co_u32 v8, vcc_lo, v16, v8
	v_lshlrev_b64 v[13:14], 2, v[18:19]
	v_add_co_ci_u32_e32 v9, vcc_lo, v17, v9, vcc_lo
	v_add_co_u32 v10, vcc_lo, v16, v11
	v_fma_f16 v67, v67, 2.0, -v33
	v_fma_f16 v39, v60, 2.0, -v76
	v_add_nc_u32_e32 v0, 0x138, v20
	v_fma_f16 v29, v29, 2.0, -v69
	v_add_co_ci_u32_e32 v11, vcc_lo, v17, v12, vcc_lo
	v_add_co_u32 v12, vcc_lo, v16, v13
	v_add_co_ci_u32_e32 v13, vcc_lo, v17, v14, vcc_lo
	v_pack_b32_f16 v3, v39, v67
	v_cmp_gt_u32_e32 vcc_lo, 0x152, v0
	v_pack_b32_f16 v15, v29, v75
	v_pack_b32_f16 v18, v76, v33
	;; [unrolled: 1-line block ×3, first 2 shown]
	global_store_dword v[1:2], v3, off
	global_store_dword v[8:9], v15, off
	;; [unrolled: 1-line block ×4, first 2 shown]
	s_and_b32 exec_lo, exec_lo, vcc_lo
	s_cbranch_execz .LBB0_20
; %bb.19:
	v_mul_i32_i24_e32 v3, 3, v37
	v_add_nc_u32_e32 v21, 0x28a, v20
	v_mad_u64_u32 v[8:9], null, s2, v0, 0
	v_add_nc_u32_e32 v22, 0x3dc, v20
	v_lshlrev_b64 v[1:2], 2, v[3:4]
	v_add_nc_u32_e32 v23, 0x52e, v20
	v_mad_u64_u32 v[10:11], null, s2, v21, 0
	v_mad_u64_u32 v[12:13], null, s2, v22, 0
	v_add_co_u32 v1, vcc_lo, s8, v1
	v_add_co_ci_u32_e32 v2, vcc_lo, s9, v2, vcc_lo
	v_mad_u64_u32 v[14:15], null, s2, v23, 0
	v_mov_b32_e32 v4, v9
	global_load_dwordx3 v[1:3], v[1:2], off offset:1344
	v_mov_b32_e32 v9, v11
	v_mad_u64_u32 v[18:19], null, s3, v0, v[4:5]
	v_mov_b32_e32 v0, v13
	v_mov_b32_e32 v4, v15
	v_mad_u64_u32 v[19:20], null, s3, v21, v[9:10]
	v_mov_b32_e32 v9, v18
	v_mov_b32_e32 v11, v19
	v_lshlrev_b64 v[8:9], 2, v[8:9]
	v_lshlrev_b64 v[10:11], 2, v[10:11]
	s_waitcnt vmcnt(0)
	v_mad_u64_u32 v[20:21], null, s3, v22, v[0:1]
	v_mad_u64_u32 v[21:22], null, s3, v23, v[4:5]
	v_lshrrev_b32_e32 v0, 16, v5
	v_mul_f16_sdwa v4, v32, v1 dst_sel:DWORD dst_unused:UNUSED_PAD src0_sel:DWORD src1_sel:WORD_1
	v_mul_f16_sdwa v19, v27, v2 dst_sel:DWORD dst_unused:UNUSED_PAD src0_sel:DWORD src1_sel:WORD_1
	;; [unrolled: 1-line block ×3, first 2 shown]
	v_mov_b32_e32 v13, v20
	v_mul_f16_sdwa v18, v0, v1 dst_sel:DWORD dst_unused:UNUSED_PAD src0_sel:DWORD src1_sel:WORD_1
	v_mov_b32_e32 v15, v21
	v_mul_f16_sdwa v20, v6, v2 dst_sel:DWORD dst_unused:UNUSED_PAD src0_sel:DWORD src1_sel:WORD_1
	v_mul_f16_sdwa v21, v28, v3 dst_sel:DWORD dst_unused:UNUSED_PAD src0_sel:DWORD src1_sel:WORD_1
	v_fma_f16 v4, v0, v1, -v4
	v_fmac_f16_e32 v18, v32, v1
	v_fma_f16 v6, v6, v2, -v19
	v_fmac_f16_e32 v20, v27, v2
	;; [unrolled: 2-line block ×3, first 2 shown]
	v_lshlrev_b64 v[0:1], 2, v[14:15]
	v_sub_f16_e32 v14, v5, v6
	v_sub_f16_e32 v15, v31, v20
	;; [unrolled: 1-line block ×4, first 2 shown]
	v_add_co_u32 v2, vcc_lo, v16, v8
	v_add_co_ci_u32_e32 v3, vcc_lo, v17, v9, vcc_lo
	v_fma_f16 v8, v5, 2.0, -v14
	v_fma_f16 v9, v31, 2.0, -v15
	v_fma_f16 v19, v4, 2.0, -v6
	v_fma_f16 v18, v18, 2.0, -v7
	v_lshlrev_b64 v[12:13], 2, v[12:13]
	v_add_co_u32 v4, vcc_lo, v16, v10
	v_sub_f16_e32 v19, v8, v19
	v_sub_f16_e32 v18, v9, v18
	v_add_co_ci_u32_e32 v5, vcc_lo, v17, v11, vcc_lo
	v_sub_f16_e32 v10, v14, v7
	v_add_f16_e32 v11, v15, v6
	v_add_co_u32 v6, vcc_lo, v16, v12
	v_fma_f16 v8, v8, 2.0, -v19
	v_fma_f16 v9, v9, 2.0, -v18
	v_add_co_ci_u32_e32 v7, vcc_lo, v17, v13, vcc_lo
	v_fma_f16 v12, v14, 2.0, -v10
	v_fma_f16 v13, v15, 2.0, -v11
	v_pack_b32_f16 v8, v8, v9
	v_add_co_u32 v0, vcc_lo, v16, v0
	v_add_co_ci_u32_e32 v1, vcc_lo, v17, v1, vcc_lo
	v_pack_b32_f16 v9, v12, v13
	v_pack_b32_f16 v12, v19, v18
	v_pack_b32_f16 v10, v10, v11
	global_store_dword v[2:3], v8, off
	global_store_dword v[4:5], v9, off
	;; [unrolled: 1-line block ×4, first 2 shown]
.LBB0_20:
	s_endpgm
	.section	.rodata,"a",@progbits
	.p2align	6, 0x0
	.amdhsa_kernel fft_rtc_fwd_len1352_factors_2_13_13_4_wgs_52_tpt_52_halfLds_half_op_CI_CI_sbrr_dirReg
		.amdhsa_group_segment_fixed_size 0
		.amdhsa_private_segment_fixed_size 0
		.amdhsa_kernarg_size 104
		.amdhsa_user_sgpr_count 6
		.amdhsa_user_sgpr_private_segment_buffer 1
		.amdhsa_user_sgpr_dispatch_ptr 0
		.amdhsa_user_sgpr_queue_ptr 0
		.amdhsa_user_sgpr_kernarg_segment_ptr 1
		.amdhsa_user_sgpr_dispatch_id 0
		.amdhsa_user_sgpr_flat_scratch_init 0
		.amdhsa_user_sgpr_private_segment_size 0
		.amdhsa_wavefront_size32 1
		.amdhsa_uses_dynamic_stack 0
		.amdhsa_system_sgpr_private_segment_wavefront_offset 0
		.amdhsa_system_sgpr_workgroup_id_x 1
		.amdhsa_system_sgpr_workgroup_id_y 0
		.amdhsa_system_sgpr_workgroup_id_z 0
		.amdhsa_system_sgpr_workgroup_info 0
		.amdhsa_system_vgpr_workitem_id 0
		.amdhsa_next_free_vgpr 132
		.amdhsa_next_free_sgpr 31
		.amdhsa_reserve_vcc 1
		.amdhsa_reserve_flat_scratch 0
		.amdhsa_float_round_mode_32 0
		.amdhsa_float_round_mode_16_64 0
		.amdhsa_float_denorm_mode_32 3
		.amdhsa_float_denorm_mode_16_64 3
		.amdhsa_dx10_clamp 1
		.amdhsa_ieee_mode 1
		.amdhsa_fp16_overflow 0
		.amdhsa_workgroup_processor_mode 1
		.amdhsa_memory_ordered 1
		.amdhsa_forward_progress 0
		.amdhsa_shared_vgpr_count 0
		.amdhsa_exception_fp_ieee_invalid_op 0
		.amdhsa_exception_fp_denorm_src 0
		.amdhsa_exception_fp_ieee_div_zero 0
		.amdhsa_exception_fp_ieee_overflow 0
		.amdhsa_exception_fp_ieee_underflow 0
		.amdhsa_exception_fp_ieee_inexact 0
		.amdhsa_exception_int_div_zero 0
	.end_amdhsa_kernel
	.text
.Lfunc_end0:
	.size	fft_rtc_fwd_len1352_factors_2_13_13_4_wgs_52_tpt_52_halfLds_half_op_CI_CI_sbrr_dirReg, .Lfunc_end0-fft_rtc_fwd_len1352_factors_2_13_13_4_wgs_52_tpt_52_halfLds_half_op_CI_CI_sbrr_dirReg
                                        ; -- End function
	.section	.AMDGPU.csdata,"",@progbits
; Kernel info:
; codeLenInByte = 22884
; NumSgprs: 33
; NumVgprs: 132
; ScratchSize: 0
; MemoryBound: 0
; FloatMode: 240
; IeeeMode: 1
; LDSByteSize: 0 bytes/workgroup (compile time only)
; SGPRBlocks: 4
; VGPRBlocks: 16
; NumSGPRsForWavesPerEU: 33
; NumVGPRsForWavesPerEU: 132
; Occupancy: 7
; WaveLimiterHint : 1
; COMPUTE_PGM_RSRC2:SCRATCH_EN: 0
; COMPUTE_PGM_RSRC2:USER_SGPR: 6
; COMPUTE_PGM_RSRC2:TRAP_HANDLER: 0
; COMPUTE_PGM_RSRC2:TGID_X_EN: 1
; COMPUTE_PGM_RSRC2:TGID_Y_EN: 0
; COMPUTE_PGM_RSRC2:TGID_Z_EN: 0
; COMPUTE_PGM_RSRC2:TIDIG_COMP_CNT: 0
	.text
	.p2alignl 6, 3214868480
	.fill 48, 4, 3214868480
	.type	__hip_cuid_c8875cf4f1b0070c,@object ; @__hip_cuid_c8875cf4f1b0070c
	.section	.bss,"aw",@nobits
	.globl	__hip_cuid_c8875cf4f1b0070c
__hip_cuid_c8875cf4f1b0070c:
	.byte	0                               ; 0x0
	.size	__hip_cuid_c8875cf4f1b0070c, 1

	.ident	"AMD clang version 19.0.0git (https://github.com/RadeonOpenCompute/llvm-project roc-6.4.0 25133 c7fe45cf4b819c5991fe208aaa96edf142730f1d)"
	.section	".note.GNU-stack","",@progbits
	.addrsig
	.addrsig_sym __hip_cuid_c8875cf4f1b0070c
	.amdgpu_metadata
---
amdhsa.kernels:
  - .args:
      - .actual_access:  read_only
        .address_space:  global
        .offset:         0
        .size:           8
        .value_kind:     global_buffer
      - .offset:         8
        .size:           8
        .value_kind:     by_value
      - .actual_access:  read_only
        .address_space:  global
        .offset:         16
        .size:           8
        .value_kind:     global_buffer
      - .actual_access:  read_only
        .address_space:  global
        .offset:         24
        .size:           8
        .value_kind:     global_buffer
      - .actual_access:  read_only
        .address_space:  global
        .offset:         32
        .size:           8
        .value_kind:     global_buffer
      - .offset:         40
        .size:           8
        .value_kind:     by_value
      - .actual_access:  read_only
        .address_space:  global
        .offset:         48
        .size:           8
        .value_kind:     global_buffer
      - .actual_access:  read_only
        .address_space:  global
        .offset:         56
        .size:           8
        .value_kind:     global_buffer
      - .offset:         64
        .size:           4
        .value_kind:     by_value
      - .actual_access:  read_only
        .address_space:  global
        .offset:         72
        .size:           8
        .value_kind:     global_buffer
      - .actual_access:  read_only
        .address_space:  global
        .offset:         80
        .size:           8
        .value_kind:     global_buffer
      - .actual_access:  read_only
        .address_space:  global
        .offset:         88
        .size:           8
        .value_kind:     global_buffer
      - .actual_access:  write_only
        .address_space:  global
        .offset:         96
        .size:           8
        .value_kind:     global_buffer
    .group_segment_fixed_size: 0
    .kernarg_segment_align: 8
    .kernarg_segment_size: 104
    .language:       OpenCL C
    .language_version:
      - 2
      - 0
    .max_flat_workgroup_size: 52
    .name:           fft_rtc_fwd_len1352_factors_2_13_13_4_wgs_52_tpt_52_halfLds_half_op_CI_CI_sbrr_dirReg
    .private_segment_fixed_size: 0
    .sgpr_count:     33
    .sgpr_spill_count: 0
    .symbol:         fft_rtc_fwd_len1352_factors_2_13_13_4_wgs_52_tpt_52_halfLds_half_op_CI_CI_sbrr_dirReg.kd
    .uniform_work_group_size: 1
    .uses_dynamic_stack: false
    .vgpr_count:     132
    .vgpr_spill_count: 0
    .wavefront_size: 32
    .workgroup_processor_mode: 1
amdhsa.target:   amdgcn-amd-amdhsa--gfx1030
amdhsa.version:
  - 1
  - 2
...

	.end_amdgpu_metadata
